;; amdgpu-corpus repo=ROCm/rocFFT kind=compiled arch=gfx906 opt=O3
	.text
	.amdgcn_target "amdgcn-amd-amdhsa--gfx906"
	.amdhsa_code_object_version 6
	.protected	fft_rtc_back_len3456_factors_6_6_6_4_4_wgs_144_tpt_144_halfLds_half_op_CI_CI_sbrr_dirReg ; -- Begin function fft_rtc_back_len3456_factors_6_6_6_4_4_wgs_144_tpt_144_halfLds_half_op_CI_CI_sbrr_dirReg
	.globl	fft_rtc_back_len3456_factors_6_6_6_4_4_wgs_144_tpt_144_halfLds_half_op_CI_CI_sbrr_dirReg
	.p2align	8
	.type	fft_rtc_back_len3456_factors_6_6_6_4_4_wgs_144_tpt_144_halfLds_half_op_CI_CI_sbrr_dirReg,@function
fft_rtc_back_len3456_factors_6_6_6_4_4_wgs_144_tpt_144_halfLds_half_op_CI_CI_sbrr_dirReg: ; @fft_rtc_back_len3456_factors_6_6_6_4_4_wgs_144_tpt_144_halfLds_half_op_CI_CI_sbrr_dirReg
; %bb.0:
	s_load_dwordx4 s[16:19], s[4:5], 0x18
	s_load_dwordx4 s[12:15], s[4:5], 0x0
	;; [unrolled: 1-line block ×3, first 2 shown]
	v_mul_u32_u24_e32 v1, 0x1c8, v0
	v_mov_b32_e32 v7, 0
	s_waitcnt lgkmcnt(0)
	s_load_dwordx2 s[20:21], s[16:17], 0x0
	s_load_dwordx2 s[2:3], s[18:19], 0x0
	v_cmp_lt_u64_e64 s[0:1], s[14:15], 2
	v_mov_b32_e32 v5, 0
	v_add_u32_sdwa v9, s6, v1 dst_sel:DWORD dst_unused:UNUSED_PAD src0_sel:DWORD src1_sel:WORD_1
	v_mov_b32_e32 v10, v7
	s_and_b64 vcc, exec, s[0:1]
	v_mov_b32_e32 v6, 0
	s_cbranch_vccnz .LBB0_8
; %bb.1:
	s_load_dwordx2 s[0:1], s[4:5], 0x10
	s_add_u32 s6, s18, 8
	s_addc_u32 s7, s19, 0
	s_add_u32 s22, s16, 8
	s_addc_u32 s23, s17, 0
	v_mov_b32_e32 v5, 0
	s_waitcnt lgkmcnt(0)
	s_add_u32 s24, s0, 8
	v_mov_b32_e32 v6, 0
	v_mov_b32_e32 v1, v5
	s_addc_u32 s25, s1, 0
	s_mov_b64 s[26:27], 1
	v_mov_b32_e32 v2, v6
.LBB0_2:                                ; =>This Inner Loop Header: Depth=1
	s_load_dwordx2 s[28:29], s[24:25], 0x0
                                        ; implicit-def: $vgpr3_vgpr4
	s_waitcnt lgkmcnt(0)
	v_or_b32_e32 v8, s29, v10
	v_cmp_ne_u64_e32 vcc, 0, v[7:8]
	s_and_saveexec_b64 s[0:1], vcc
	s_xor_b64 s[30:31], exec, s[0:1]
	s_cbranch_execz .LBB0_4
; %bb.3:                                ;   in Loop: Header=BB0_2 Depth=1
	v_cvt_f32_u32_e32 v3, s28
	v_cvt_f32_u32_e32 v4, s29
	s_sub_u32 s0, 0, s28
	s_subb_u32 s1, 0, s29
	v_mac_f32_e32 v3, 0x4f800000, v4
	v_rcp_f32_e32 v3, v3
	v_mul_f32_e32 v3, 0x5f7ffffc, v3
	v_mul_f32_e32 v4, 0x2f800000, v3
	v_trunc_f32_e32 v4, v4
	v_mac_f32_e32 v3, 0xcf800000, v4
	v_cvt_u32_f32_e32 v4, v4
	v_cvt_u32_f32_e32 v3, v3
	v_mul_lo_u32 v8, s0, v4
	v_mul_hi_u32 v11, s0, v3
	v_mul_lo_u32 v13, s1, v3
	v_mul_lo_u32 v12, s0, v3
	v_add_u32_e32 v8, v11, v8
	v_add_u32_e32 v8, v8, v13
	v_mul_hi_u32 v11, v3, v12
	v_mul_lo_u32 v13, v3, v8
	v_mul_hi_u32 v15, v3, v8
	v_mul_hi_u32 v14, v4, v12
	v_mul_lo_u32 v12, v4, v12
	v_mul_hi_u32 v16, v4, v8
	v_add_co_u32_e32 v11, vcc, v11, v13
	v_addc_co_u32_e32 v13, vcc, 0, v15, vcc
	v_mul_lo_u32 v8, v4, v8
	v_add_co_u32_e32 v11, vcc, v11, v12
	v_addc_co_u32_e32 v11, vcc, v13, v14, vcc
	v_addc_co_u32_e32 v12, vcc, 0, v16, vcc
	v_add_co_u32_e32 v8, vcc, v11, v8
	v_addc_co_u32_e32 v11, vcc, 0, v12, vcc
	v_add_co_u32_e32 v3, vcc, v3, v8
	v_addc_co_u32_e32 v4, vcc, v4, v11, vcc
	v_mul_lo_u32 v8, s0, v4
	v_mul_hi_u32 v11, s0, v3
	v_mul_lo_u32 v12, s1, v3
	v_mul_lo_u32 v13, s0, v3
	v_add_u32_e32 v8, v11, v8
	v_add_u32_e32 v8, v8, v12
	v_mul_lo_u32 v14, v3, v8
	v_mul_hi_u32 v15, v3, v13
	v_mul_hi_u32 v16, v3, v8
	;; [unrolled: 1-line block ×3, first 2 shown]
	v_mul_lo_u32 v13, v4, v13
	v_mul_hi_u32 v11, v4, v8
	v_add_co_u32_e32 v14, vcc, v15, v14
	v_addc_co_u32_e32 v15, vcc, 0, v16, vcc
	v_mul_lo_u32 v8, v4, v8
	v_add_co_u32_e32 v13, vcc, v14, v13
	v_addc_co_u32_e32 v12, vcc, v15, v12, vcc
	v_addc_co_u32_e32 v11, vcc, 0, v11, vcc
	v_add_co_u32_e32 v8, vcc, v12, v8
	v_addc_co_u32_e32 v11, vcc, 0, v11, vcc
	v_add_co_u32_e32 v8, vcc, v3, v8
	v_addc_co_u32_e32 v11, vcc, v4, v11, vcc
	v_mad_u64_u32 v[3:4], s[0:1], v9, v11, 0
	v_mul_hi_u32 v12, v9, v8
	v_add_co_u32_e32 v13, vcc, v12, v3
	v_addc_co_u32_e32 v14, vcc, 0, v4, vcc
	v_mad_u64_u32 v[3:4], s[0:1], v10, v8, 0
	v_mad_u64_u32 v[11:12], s[0:1], v10, v11, 0
	v_add_co_u32_e32 v3, vcc, v13, v3
	v_addc_co_u32_e32 v3, vcc, v14, v4, vcc
	v_addc_co_u32_e32 v4, vcc, 0, v12, vcc
	v_add_co_u32_e32 v8, vcc, v3, v11
	v_addc_co_u32_e32 v11, vcc, 0, v4, vcc
	v_mul_lo_u32 v12, s29, v8
	v_mul_lo_u32 v13, s28, v11
	v_mad_u64_u32 v[3:4], s[0:1], s28, v8, 0
	v_add3_u32 v4, v4, v13, v12
	v_sub_u32_e32 v12, v10, v4
	v_mov_b32_e32 v13, s29
	v_sub_co_u32_e32 v3, vcc, v9, v3
	v_subb_co_u32_e64 v12, s[0:1], v12, v13, vcc
	v_subrev_co_u32_e64 v13, s[0:1], s28, v3
	v_subbrev_co_u32_e64 v12, s[0:1], 0, v12, s[0:1]
	v_cmp_le_u32_e64 s[0:1], s29, v12
	v_cndmask_b32_e64 v14, 0, -1, s[0:1]
	v_cmp_le_u32_e64 s[0:1], s28, v13
	v_cndmask_b32_e64 v13, 0, -1, s[0:1]
	v_cmp_eq_u32_e64 s[0:1], s29, v12
	v_cndmask_b32_e64 v12, v14, v13, s[0:1]
	v_add_co_u32_e64 v13, s[0:1], 2, v8
	v_addc_co_u32_e64 v14, s[0:1], 0, v11, s[0:1]
	v_add_co_u32_e64 v15, s[0:1], 1, v8
	v_addc_co_u32_e64 v16, s[0:1], 0, v11, s[0:1]
	v_subb_co_u32_e32 v4, vcc, v10, v4, vcc
	v_cmp_ne_u32_e64 s[0:1], 0, v12
	v_cmp_le_u32_e32 vcc, s29, v4
	v_cndmask_b32_e64 v12, v16, v14, s[0:1]
	v_cndmask_b32_e64 v14, 0, -1, vcc
	v_cmp_le_u32_e32 vcc, s28, v3
	v_cndmask_b32_e64 v3, 0, -1, vcc
	v_cmp_eq_u32_e32 vcc, s29, v4
	v_cndmask_b32_e32 v3, v14, v3, vcc
	v_cmp_ne_u32_e32 vcc, 0, v3
	v_cndmask_b32_e64 v3, v15, v13, s[0:1]
	v_cndmask_b32_e32 v4, v11, v12, vcc
	v_cndmask_b32_e32 v3, v8, v3, vcc
.LBB0_4:                                ;   in Loop: Header=BB0_2 Depth=1
	s_andn2_saveexec_b64 s[0:1], s[30:31]
	s_cbranch_execz .LBB0_6
; %bb.5:                                ;   in Loop: Header=BB0_2 Depth=1
	v_cvt_f32_u32_e32 v3, s28
	s_sub_i32 s30, 0, s28
	v_rcp_iflag_f32_e32 v3, v3
	v_mul_f32_e32 v3, 0x4f7ffffe, v3
	v_cvt_u32_f32_e32 v3, v3
	v_mul_lo_u32 v4, s30, v3
	v_mul_hi_u32 v4, v3, v4
	v_add_u32_e32 v3, v3, v4
	v_mul_hi_u32 v3, v9, v3
	v_mul_lo_u32 v4, v3, s28
	v_add_u32_e32 v8, 1, v3
	v_sub_u32_e32 v4, v9, v4
	v_subrev_u32_e32 v11, s28, v4
	v_cmp_le_u32_e32 vcc, s28, v4
	v_cndmask_b32_e32 v4, v4, v11, vcc
	v_cndmask_b32_e32 v3, v3, v8, vcc
	v_add_u32_e32 v8, 1, v3
	v_cmp_le_u32_e32 vcc, s28, v4
	v_cndmask_b32_e32 v3, v3, v8, vcc
	v_mov_b32_e32 v4, v7
.LBB0_6:                                ;   in Loop: Header=BB0_2 Depth=1
	s_or_b64 exec, exec, s[0:1]
	v_mul_lo_u32 v8, v4, s28
	v_mul_lo_u32 v13, v3, s29
	v_mad_u64_u32 v[11:12], s[0:1], v3, s28, 0
	s_load_dwordx2 s[0:1], s[22:23], 0x0
	s_load_dwordx2 s[28:29], s[6:7], 0x0
	v_add3_u32 v8, v12, v13, v8
	v_sub_co_u32_e32 v9, vcc, v9, v11
	v_subb_co_u32_e32 v8, vcc, v10, v8, vcc
	s_waitcnt lgkmcnt(0)
	v_mul_lo_u32 v10, s0, v8
	v_mul_lo_u32 v11, s1, v9
	v_mad_u64_u32 v[5:6], s[0:1], s0, v9, v[5:6]
	v_mul_lo_u32 v8, s28, v8
	v_mul_lo_u32 v12, s29, v9
	v_mad_u64_u32 v[1:2], s[0:1], s28, v9, v[1:2]
	s_add_u32 s26, s26, 1
	s_addc_u32 s27, s27, 0
	s_add_u32 s6, s6, 8
	v_add3_u32 v2, v12, v2, v8
	s_addc_u32 s7, s7, 0
	v_mov_b32_e32 v8, s14
	s_add_u32 s22, s22, 8
	v_mov_b32_e32 v9, s15
	s_addc_u32 s23, s23, 0
	v_cmp_ge_u64_e32 vcc, s[26:27], v[8:9]
	s_add_u32 s24, s24, 8
	v_add3_u32 v6, v11, v6, v10
	s_addc_u32 s25, s25, 0
	s_cbranch_vccnz .LBB0_9
; %bb.7:                                ;   in Loop: Header=BB0_2 Depth=1
	v_mov_b32_e32 v10, v4
	v_mov_b32_e32 v9, v3
	s_branch .LBB0_2
.LBB0_8:
	v_mov_b32_e32 v1, v5
	v_mov_b32_e32 v3, v9
	;; [unrolled: 1-line block ×4, first 2 shown]
.LBB0_9:
	s_load_dwordx2 s[0:1], s[4:5], 0x28
	s_lshl_b64 s[14:15], s[14:15], 3
	s_add_u32 s4, s18, s14
	s_addc_u32 s5, s19, s15
                                        ; implicit-def: $vgpr7
                                        ; implicit-def: $vgpr8
                                        ; implicit-def: $vgpr10
                                        ; implicit-def: $vgpr12
                                        ; implicit-def: $vgpr9
                                        ; implicit-def: $vgpr11
	s_waitcnt lgkmcnt(0)
	v_cmp_gt_u64_e32 vcc, s[0:1], v[3:4]
	v_cmp_le_u64_e64 s[0:1], s[0:1], v[3:4]
	s_and_saveexec_b64 s[6:7], s[0:1]
	s_xor_b64 s[0:1], exec, s[6:7]
; %bb.10:
	s_mov_b32 s6, 0x1c71c72
	v_mul_hi_u32 v5, v0, s6
	v_mul_u32_u24_e32 v5, 0x90, v5
	v_sub_u32_e32 v7, v0, v5
	v_add_u32_e32 v8, 0x90, v7
	v_add_u32_e32 v10, 0x120, v7
	;; [unrolled: 1-line block ×5, first 2 shown]
                                        ; implicit-def: $vgpr0
                                        ; implicit-def: $vgpr5_vgpr6
; %bb.11:
	s_or_saveexec_b64 s[6:7], s[0:1]
                                        ; implicit-def: $vgpr44
                                        ; implicit-def: $vgpr20
                                        ; implicit-def: $vgpr23
                                        ; implicit-def: $vgpr17
                                        ; implicit-def: $vgpr45
                                        ; implicit-def: $vgpr18
                                        ; implicit-def: $vgpr24
                                        ; implicit-def: $vgpr15
                                        ; implicit-def: $vgpr46
                                        ; implicit-def: $vgpr19
                                        ; implicit-def: $vgpr43
                                        ; implicit-def: $vgpr16
                                        ; implicit-def: $vgpr57
                                        ; implicit-def: $vgpr14
                                        ; implicit-def: $vgpr31
                                        ; implicit-def: $vgpr13
                                        ; implicit-def: $vgpr59
                                        ; implicit-def: $vgpr27
                                        ; implicit-def: $vgpr33
                                        ; implicit-def: $vgpr22
                                        ; implicit-def: $vgpr60
                                        ; implicit-def: $vgpr30
                                        ; implicit-def: $vgpr58
                                        ; implicit-def: $vgpr26
                                        ; implicit-def: $vgpr53
                                        ; implicit-def: $vgpr29
                                        ; implicit-def: $vgpr35
                                        ; implicit-def: $vgpr25
                                        ; implicit-def: $vgpr55
                                        ; implicit-def: $vgpr28
                                        ; implicit-def: $vgpr36
                                        ; implicit-def: $vgpr21
                                        ; implicit-def: $vgpr56
                                        ; implicit-def: $vgpr34
                                        ; implicit-def: $vgpr54
                                        ; implicit-def: $vgpr32
                                        ; implicit-def: $vgpr49
                                        ; implicit-def: $vgpr41
                                        ; implicit-def: $vgpr47
                                        ; implicit-def: $vgpr38
                                        ; implicit-def: $vgpr51
                                        ; implicit-def: $vgpr40
                                        ; implicit-def: $vgpr48
                                        ; implicit-def: $vgpr37
                                        ; implicit-def: $vgpr52
                                        ; implicit-def: $vgpr42
                                        ; implicit-def: $vgpr50
                                        ; implicit-def: $vgpr39
	s_xor_b64 exec, exec, s[6:7]
	s_cbranch_execz .LBB0_13
; %bb.12:
	s_add_u32 s0, s16, s14
	s_addc_u32 s1, s17, s15
	s_mov_b32 s14, 0x1c71c72
	v_mul_hi_u32 v7, v0, s14
	s_load_dwordx2 s[0:1], s[0:1], 0x0
	v_lshlrev_b64 v[5:6], 2, v[5:6]
	v_mul_u32_u24_e32 v7, 0x90, v7
	v_sub_u32_e32 v7, v0, v7
	s_waitcnt lgkmcnt(0)
	v_mul_lo_u32 v13, s1, v3
	v_mul_lo_u32 v14, s0, v4
	v_mad_u64_u32 v[8:9], s[0:1], s0, v3, 0
	v_mad_u64_u32 v[10:11], s[14:15], s20, v7, 0
	v_add3_u32 v9, v9, v14, v13
	v_lshlrev_b64 v[8:9], 2, v[8:9]
	v_mov_b32_e32 v0, v11
	v_mad_u64_u32 v[11:12], s[0:1], s21, v7, v[0:1]
	v_mov_b32_e32 v0, s9
	v_add_co_u32_e64 v8, s[0:1], s8, v8
	v_addc_co_u32_e64 v0, s[0:1], v0, v9, s[0:1]
	v_add_u32_e32 v9, 0x240, v7
	v_mad_u64_u32 v[12:13], s[0:1], s20, v9, 0
	v_add_co_u32_e64 v53, s[0:1], v8, v5
	v_addc_co_u32_e64 v54, s[0:1], v0, v6, s[0:1]
	v_mov_b32_e32 v0, v13
	v_add_u32_e32 v8, 0x480, v7
	v_lshlrev_b64 v[5:6], 2, v[10:11]
	v_mad_u64_u32 v[10:11], s[0:1], s21, v9, v[0:1]
	v_mad_u64_u32 v[14:15], s[0:1], s20, v8, 0
	v_add_co_u32_e64 v5, s[0:1], v53, v5
	v_mov_b32_e32 v13, v10
	v_mov_b32_e32 v0, v15
	v_addc_co_u32_e64 v6, s[0:1], v54, v6, s[0:1]
	v_lshlrev_b64 v[10:11], 2, v[12:13]
	v_mad_u64_u32 v[12:13], s[0:1], s21, v8, v[0:1]
	v_add_u32_e32 v8, 0x6c0, v7
	v_mad_u64_u32 v[16:17], s[0:1], s20, v8, 0
	v_add_co_u32_e64 v21, s[0:1], v53, v10
	v_mov_b32_e32 v0, v17
	v_addc_co_u32_e64 v22, s[0:1], v54, v11, s[0:1]
	v_mov_b32_e32 v15, v12
	v_mad_u64_u32 v[12:13], s[0:1], s21, v8, v[0:1]
	v_or_b32_e32 v8, 0x900, v7
	v_lshlrev_b64 v[10:11], 2, v[14:15]
	v_mad_u64_u32 v[13:14], s[0:1], s20, v8, 0
	v_add_co_u32_e64 v23, s[0:1], v53, v10
	v_mov_b32_e32 v0, v14
	v_addc_co_u32_e64 v24, s[0:1], v54, v11, s[0:1]
	v_mov_b32_e32 v17, v12
	v_mad_u64_u32 v[14:15], s[0:1], s21, v8, v[0:1]
	v_add_u32_e32 v8, 0xb40, v7
	v_lshlrev_b64 v[10:11], 2, v[16:17]
	v_mad_u64_u32 v[15:16], s[0:1], s20, v8, 0
	v_add_co_u32_e64 v25, s[0:1], v53, v10
	v_mov_b32_e32 v0, v16
	v_addc_co_u32_e64 v26, s[0:1], v54, v11, s[0:1]
	v_lshlrev_b64 v[10:11], 2, v[13:14]
	v_mad_u64_u32 v[12:13], s[0:1], s21, v8, v[0:1]
	v_add_u32_e32 v8, 0x90, v7
	v_mad_u64_u32 v[13:14], s[0:1], s20, v8, 0
	v_add_co_u32_e64 v27, s[0:1], v53, v10
	v_mov_b32_e32 v0, v14
	v_addc_co_u32_e64 v28, s[0:1], v54, v11, s[0:1]
	v_mad_u64_u32 v[10:11], s[0:1], s21, v8, v[0:1]
	v_add_u32_e32 v11, 0x2d0, v7
	v_mad_u64_u32 v[17:18], s[0:1], s20, v11, 0
	v_mov_b32_e32 v16, v12
	v_lshlrev_b64 v[15:16], 2, v[15:16]
	v_mov_b32_e32 v14, v10
	v_add_co_u32_e64 v29, s[0:1], v53, v15
	v_mov_b32_e32 v0, v18
	v_addc_co_u32_e64 v30, s[0:1], v54, v16, s[0:1]
	v_lshlrev_b64 v[12:13], 2, v[13:14]
	v_mad_u64_u32 v[14:15], s[0:1], s21, v11, v[0:1]
	v_add_co_u32_e64 v31, s[0:1], v53, v12
	v_add_u32_e32 v10, 0x510, v7
	v_addc_co_u32_e64 v32, s[0:1], v54, v13, s[0:1]
	v_mad_u64_u32 v[33:34], s[0:1], s20, v10, 0
	v_mov_b32_e32 v18, v14
	v_lshlrev_b64 v[12:13], 2, v[17:18]
	v_mov_b32_e32 v0, v34
	v_add_co_u32_e64 v35, s[0:1], v53, v12
	v_addc_co_u32_e64 v36, s[0:1], v54, v13, s[0:1]
	v_mad_u64_u32 v[12:13], s[0:1], s21, v10, v[0:1]
	v_add_u32_e32 v10, 0x750, v7
	v_mad_u64_u32 v[37:38], s[0:1], s20, v10, 0
	global_load_dword v20, v[5:6], off
	global_load_dword v17, v[21:22], off
	;; [unrolled: 1-line block ×8, first 2 shown]
	v_mov_b32_e32 v34, v12
	v_mov_b32_e32 v0, v38
	v_mad_u64_u32 v[21:22], s[0:1], s21, v10, v[0:1]
	v_add_u32_e32 v10, 0x990, v7
	v_mad_u64_u32 v[22:23], s[0:1], s20, v10, 0
	v_lshlrev_b64 v[5:6], 2, v[33:34]
	v_mov_b32_e32 v38, v21
	v_add_co_u32_e64 v5, s[0:1], v53, v5
	v_mov_b32_e32 v0, v23
	v_addc_co_u32_e64 v6, s[0:1], v54, v6, s[0:1]
	v_mad_u64_u32 v[26:27], s[0:1], s21, v10, v[0:1]
	v_add_u32_e32 v10, 0xbd0, v7
	v_mad_u64_u32 v[27:28], s[0:1], s20, v10, 0
	v_lshlrev_b64 v[24:25], 2, v[37:38]
	v_mov_b32_e32 v23, v26
	v_add_co_u32_e64 v31, s[0:1], v53, v24
	v_mov_b32_e32 v0, v28
	v_addc_co_u32_e64 v32, s[0:1], v54, v25, s[0:1]
	v_lshlrev_b64 v[21:22], 2, v[22:23]
	v_mad_u64_u32 v[23:24], s[0:1], s21, v10, v[0:1]
	v_add_u32_e32 v10, 0x120, v7
	v_mad_u64_u32 v[24:25], s[0:1], s20, v10, 0
	v_add_co_u32_e64 v33, s[0:1], v53, v21
	v_mov_b32_e32 v0, v25
	v_addc_co_u32_e64 v34, s[0:1], v54, v22, s[0:1]
	v_mov_b32_e32 v28, v23
	v_mad_u64_u32 v[25:26], s[0:1], s21, v10, v[0:1]
	v_add_u32_e32 v12, 0x360, v7
	v_lshlrev_b64 v[21:22], 2, v[27:28]
	v_mad_u64_u32 v[26:27], s[0:1], s20, v12, 0
	v_add_co_u32_e64 v35, s[0:1], v53, v21
	v_mov_b32_e32 v0, v27
	v_addc_co_u32_e64 v36, s[0:1], v54, v22, s[0:1]
	v_lshlrev_b64 v[21:22], 2, v[24:25]
	v_mad_u64_u32 v[23:24], s[0:1], s21, v12, v[0:1]
	v_add_u32_e32 v12, 0x5a0, v7
	v_mad_u64_u32 v[24:25], s[0:1], s20, v12, 0
	v_add_co_u32_e64 v37, s[0:1], v53, v21
	v_mov_b32_e32 v27, v23
	v_mov_b32_e32 v0, v25
	v_addc_co_u32_e64 v38, s[0:1], v54, v22, s[0:1]
	v_lshlrev_b64 v[21:22], 2, v[26:27]
	v_mad_u64_u32 v[25:26], s[0:1], s21, v12, v[0:1]
	v_add_u32_e32 v12, 0x7e0, v7
	v_mad_u64_u32 v[26:27], s[0:1], s20, v12, 0
	v_add_co_u32_e64 v39, s[0:1], v53, v21
	v_mov_b32_e32 v0, v27
	v_addc_co_u32_e64 v40, s[0:1], v54, v22, s[0:1]
	v_lshlrev_b64 v[21:22], 2, v[24:25]
	v_mad_u64_u32 v[23:24], s[0:1], s21, v12, v[0:1]
	v_add_co_u32_e64 v41, s[0:1], v53, v21
	v_add_u32_e32 v12, 0xa20, v7
	v_addc_co_u32_e64 v42, s[0:1], v54, v22, s[0:1]
	v_mov_b32_e32 v27, v23
	v_mad_u64_u32 v[23:24], s[0:1], s20, v12, 0
	v_lshlrev_b64 v[21:22], 2, v[26:27]
	s_waitcnt vmcnt(1)
	v_lshrrev_b32_e32 v57, 16, v14
	v_add_co_u32_e64 v43, s[0:1], v53, v21
	v_mov_b32_e32 v0, v24
	v_addc_co_u32_e64 v44, s[0:1], v54, v22, s[0:1]
	v_mad_u64_u32 v[24:25], s[0:1], s21, v12, v[0:1]
	v_add_u32_e32 v12, 0xc60, v7
	v_mad_u64_u32 v[45:46], s[0:1], s20, v12, 0
	global_load_dword v27, v[5:6], off
	global_load_dword v22, v[31:32], off
	;; [unrolled: 1-line block ×8, first 2 shown]
	v_lshlrev_b64 v[5:6], 2, v[23:24]
	v_mov_b32_e32 v0, v46
	v_mad_u64_u32 v[23:24], s[0:1], s21, v12, v[0:1]
	v_add_u32_e32 v12, 0x1b0, v7
	v_mad_u64_u32 v[31:32], s[0:1], s20, v12, 0
	v_add_co_u32_e64 v5, s[0:1], v53, v5
	v_mov_b32_e32 v0, v32
	v_addc_co_u32_e64 v6, s[0:1], v54, v6, s[0:1]
	v_mad_u64_u32 v[32:33], s[0:1], s21, v12, v[0:1]
	v_add_u32_e32 v35, 0x3f0, v7
	v_mad_u64_u32 v[33:34], s[0:1], s20, v35, 0
	v_mov_b32_e32 v46, v23
	v_lshlrev_b64 v[23:24], 2, v[45:46]
	v_mov_b32_e32 v0, v34
	v_add_co_u32_e64 v23, s[0:1], v53, v23
	v_addc_co_u32_e64 v24, s[0:1], v54, v24, s[0:1]
	v_mad_u64_u32 v[34:35], s[0:1], s21, v35, v[0:1]
	v_add_u32_e32 v37, 0x630, v7
	v_mad_u64_u32 v[35:36], s[0:1], s20, v37, 0
	v_lshlrev_b64 v[31:32], 2, v[31:32]
	v_add_co_u32_e64 v43, s[0:1], v53, v31
	v_mov_b32_e32 v0, v36
	v_addc_co_u32_e64 v44, s[0:1], v54, v32, s[0:1]
	v_lshlrev_b64 v[31:32], 2, v[33:34]
	v_mad_u64_u32 v[33:34], s[0:1], s21, v37, v[0:1]
	v_add_u32_e32 v34, 0x870, v7
	v_mad_u64_u32 v[37:38], s[0:1], s20, v34, 0
	v_add_co_u32_e64 v45, s[0:1], v53, v31
	v_mov_b32_e32 v36, v33
	v_mov_b32_e32 v0, v38
	v_addc_co_u32_e64 v46, s[0:1], v54, v32, s[0:1]
	v_lshlrev_b64 v[31:32], 2, v[35:36]
	v_mad_u64_u32 v[33:34], s[0:1], s21, v34, v[0:1]
	v_add_u32_e32 v36, 0xab0, v7
	v_mad_u64_u32 v[34:35], s[0:1], s20, v36, 0
	v_add_co_u32_e64 v47, s[0:1], v53, v31
	v_mov_b32_e32 v0, v35
	v_addc_co_u32_e64 v48, s[0:1], v54, v32, s[0:1]
	v_mov_b32_e32 v38, v33
	v_mad_u64_u32 v[35:36], s[0:1], s21, v36, v[0:1]
	v_add_u32_e32 v33, 0xcf0, v7
	v_lshlrev_b64 v[31:32], 2, v[37:38]
	v_mad_u64_u32 v[36:37], s[0:1], s20, v33, 0
	v_add_co_u32_e64 v49, s[0:1], v53, v31
	v_mov_b32_e32 v0, v37
	v_addc_co_u32_e64 v50, s[0:1], v54, v32, s[0:1]
	v_lshlrev_b64 v[31:32], 2, v[34:35]
	v_mad_u64_u32 v[33:34], s[0:1], s21, v33, v[0:1]
	v_add_co_u32_e64 v51, s[0:1], v53, v31
	v_mov_b32_e32 v37, v33
	v_addc_co_u32_e64 v52, s[0:1], v54, v32, s[0:1]
	v_lshlrev_b64 v[31:32], 2, v[36:37]
	s_waitcnt vmcnt(7)
	v_lshrrev_b32_e32 v59, 16, v27
	v_add_co_u32_e64 v35, s[0:1], v53, v31
	v_addc_co_u32_e64 v36, s[0:1], v54, v32, s[0:1]
	global_load_dword v34, v[5:6], off
	global_load_dword v32, v[23:24], off
	;; [unrolled: 1-line block ×8, first 2 shown]
	v_lshrrev_b32_e32 v44, 16, v20
	v_lshrrev_b32_e32 v23, 16, v17
	;; [unrolled: 1-line block ×7, first 2 shown]
	s_waitcnt vmcnt(14)
	v_lshrrev_b32_e32 v33, 16, v22
	s_waitcnt vmcnt(13)
	v_lshrrev_b32_e32 v60, 16, v30
	;; [unrolled: 2-line block ×15, first 2 shown]
.LBB0_13:
	s_or_b64 exec, exec, s[6:7]
	v_add_f16_e32 v5, v18, v19
	v_fma_f16 v5, v5, -0.5, v20
	v_sub_f16_e32 v6, v45, v46
	s_mov_b32 s1, 0xbaee
	s_movk_i32 s0, 0x3aee
	v_add_f16_e32 v0, v20, v18
	v_fma_f16 v20, v6, s1, v5
	v_fma_f16 v5, v6, s0, v5
	v_add_f16_e32 v6, v44, v45
	v_add_f16_e32 v45, v45, v46
	v_fma_f16 v44, v45, -0.5, v44
	v_sub_f16_e32 v18, v18, v19
	v_add_f16_e32 v0, v0, v19
	v_fma_f16 v19, v18, s0, v44
	v_fma_f16 v18, v18, s1, v44
	v_add_f16_e32 v44, v17, v15
	v_add_f16_e32 v6, v6, v46
	;; [unrolled: 1-line block ×4, first 2 shown]
	v_fma_f16 v17, v44, -0.5, v17
	v_sub_f16_e32 v44, v24, v43
	v_fma_f16 v45, v44, s1, v17
	v_fma_f16 v17, v44, s0, v17
	v_add_f16_e32 v44, v23, v24
	v_add_f16_e32 v24, v24, v43
	v_fma_f16 v23, v24, -0.5, v23
	v_sub_f16_e32 v15, v15, v16
	v_fma_f16 v16, v15, s0, v23
	v_add_f16_e32 v61, v44, v43
	v_fma_f16 v15, v15, s1, v23
	v_mul_f16_e32 v23, 0xbaee, v16
	v_mul_f16_e32 v44, 0x3aee, v45
	v_fma_f16 v23, v45, 0.5, v23
	v_mul_f16_e32 v24, 0xbaee, v15
	v_fma_f16 v16, v16, 0.5, v44
	v_mul_f16_e32 v15, -0.5, v15
	v_add_f16_e32 v63, v20, v23
	v_fma_f16 v24, v17, -0.5, v24
	v_add_f16_e32 v44, v19, v16
	v_fma_f16 v15, v17, s0, v15
	v_sub_f16_e32 v17, v20, v23
	v_sub_f16_e32 v23, v19, v16
	v_add_f16_e32 v16, v59, v60
	v_add_f16_e32 v62, v0, v46
	;; [unrolled: 1-line block ×5, first 2 shown]
	v_sub_f16_e32 v0, v0, v46
	v_sub_f16_e32 v20, v5, v24
	;; [unrolled: 1-line block ×4, first 2 shown]
	v_add_f16_e32 v5, v14, v27
	v_add_f16_e32 v6, v27, v30
	v_fma_f16 v16, v16, -0.5, v57
	v_sub_f16_e32 v18, v27, v30
	v_add_f16_e32 v27, v22, v26
	v_fma_f16 v19, v18, s0, v16
	v_fma_f16 v16, v18, s1, v16
	v_add_f16_e32 v18, v13, v22
	v_fma_f16 v13, v27, -0.5, v13
	v_sub_f16_e32 v27, v33, v58
	v_add_f16_e32 v5, v5, v30
	v_fma_f16 v6, v6, -0.5, v14
	v_sub_f16_e32 v14, v59, v60
	v_fma_f16 v30, v27, s1, v13
	v_fma_f16 v13, v27, s0, v13
	v_add_f16_e32 v27, v31, v33
	v_fma_f16 v15, v14, s1, v6
	v_fma_f16 v6, v14, s0, v6
	v_add_f16_e32 v14, v57, v59
	v_add_f16_e32 v57, v27, v58
	;; [unrolled: 1-line block ×3, first 2 shown]
	v_fma_f16 v27, v27, -0.5, v31
	v_sub_f16_e32 v22, v22, v26
	v_fma_f16 v31, v22, s0, v27
	v_add_f16_e32 v18, v18, v26
	v_fma_f16 v22, v22, s1, v27
	v_mul_f16_e32 v26, 0xbaee, v31
	v_fma_f16 v33, v30, 0.5, v26
	v_mul_f16_e32 v26, 0xbaee, v22
	v_mul_f16_e32 v22, -0.5, v22
	v_add_f16_e32 v14, v14, v60
	v_fma_f16 v60, v13, -0.5, v26
	v_mul_f16_e32 v27, 0x3aee, v30
	v_fma_f16 v13, v13, s0, v22
	v_fma_f16 v30, v31, 0.5, v27
	v_add_f16_e32 v31, v16, v13
	v_sub_f16_e32 v22, v16, v13
	v_add_f16_e32 v13, v28, v34
	v_add_f16_e32 v59, v15, v33
	;; [unrolled: 1-line block ×3, first 2 shown]
	v_sub_f16_e32 v15, v15, v33
	v_sub_f16_e32 v33, v14, v57
	v_fma_f16 v13, v13, -0.5, v29
	v_sub_f16_e32 v14, v55, v56
	v_fma_f16 v16, v14, s1, v13
	v_fma_f16 v13, v14, s0, v13
	v_add_f16_e32 v14, v53, v55
	v_add_f16_e32 v58, v5, v18
	;; [unrolled: 1-line block ×3, first 2 shown]
	v_sub_f16_e32 v18, v5, v18
	v_sub_f16_e32 v5, v19, v30
	v_add_f16_e32 v19, v14, v56
	v_add_f16_e32 v14, v55, v56
	;; [unrolled: 1-line block ×3, first 2 shown]
	v_sub_f16_e32 v60, v6, v60
	v_add_f16_e32 v6, v29, v28
	v_fma_f16 v14, v14, -0.5, v53
	v_sub_f16_e32 v28, v28, v34
	v_add_f16_e32 v29, v21, v32
	v_add_f16_e32 v6, v6, v34
	v_fma_f16 v34, v28, s0, v14
	v_fma_f16 v28, v28, s1, v14
	v_add_f16_e32 v14, v25, v21
	v_fma_f16 v25, v29, -0.5, v25
	v_sub_f16_e32 v29, v36, v54
	v_fma_f16 v30, v29, s1, v25
	v_fma_f16 v25, v29, s0, v25
	v_add_f16_e32 v29, v35, v36
	v_add_f16_e32 v53, v29, v54
	;; [unrolled: 1-line block ×3, first 2 shown]
	v_fma_f16 v29, v29, -0.5, v35
	v_sub_f16_e32 v21, v21, v32
	v_add_f16_e32 v14, v14, v32
	v_fma_f16 v32, v21, s0, v29
	v_fma_f16 v21, v21, s1, v29
	v_mul_f16_e32 v29, 0xbaee, v32
	v_fma_f16 v35, v30, 0.5, v29
	v_mul_f16_e32 v29, 0xbaee, v21
	v_mul_f16_e32 v21, -0.5, v21
	v_fma_f16 v36, v25, -0.5, v29
	v_mul_f16_e32 v30, 0x3aee, v30
	v_fma_f16 v21, v25, s0, v21
	v_add_f16_e32 v54, v6, v14
	v_add_f16_e32 v55, v16, v35
	;; [unrolled: 1-line block ×3, first 2 shown]
	v_fma_f16 v57, v32, 0.5, v30
	v_add_f16_e32 v32, v28, v21
	v_sub_f16_e32 v25, v6, v14
	v_sub_f16_e32 v6, v16, v35
	;; [unrolled: 1-line block ×4, first 2 shown]
	v_add_f16_e32 v13, v41, v40
	v_add_f16_e32 v28, v51, v52
	;; [unrolled: 1-line block ×4, first 2 shown]
	v_fma_f16 v28, v28, -0.5, v49
	v_sub_f16_e32 v40, v40, v42
	v_add_f16_e32 v42, v37, v39
	v_add_f16_e32 v29, v19, v53
	v_sub_f16_e32 v36, v19, v53
	v_fma_f16 v16, v16, -0.5, v41
	v_sub_f16_e32 v19, v51, v52
	v_fma_f16 v41, v40, s0, v28
	v_fma_f16 v28, v40, s1, v28
	v_add_f16_e32 v40, v38, v37
	v_fma_f16 v38, v42, -0.5, v38
	v_sub_f16_e32 v42, v48, v50
	v_fma_f16 v21, v19, s1, v16
	v_fma_f16 v16, v19, s0, v16
	v_add_f16_e32 v19, v49, v51
	v_fma_f16 v49, v42, s1, v38
	v_fma_f16 v42, v42, s0, v38
	v_add_f16_e32 v38, v47, v48
	v_add_f16_e32 v51, v38, v50
	;; [unrolled: 1-line block ×3, first 2 shown]
	v_fma_f16 v38, v38, -0.5, v47
	v_sub_f16_e32 v37, v37, v39
	v_add_f16_e32 v40, v40, v39
	v_fma_f16 v39, v37, s0, v38
	v_fma_f16 v47, v37, s1, v38
	v_mul_f16_e32 v37, 0xbaee, v39
	v_mul_f16_e32 v38, 0x3aee, v49
	v_fma_f16 v50, v49, 0.5, v37
	v_fma_f16 v49, v39, 0.5, v38
	v_mul_f16_e32 v39, -0.5, v47
	v_add_f16_e32 v48, v13, v40
	v_mul_f16_e32 v37, 0xbaee, v47
	v_fma_f16 v47, v42, s0, v39
	v_sub_f16_e32 v65, v13, v40
	v_mul_u32_u24_e32 v13, 6, v7
	v_add_f16_e32 v38, v41, v49
	v_add_f16_e32 v39, v28, v47
	v_sub_f16_e32 v40, v41, v49
	v_sub_f16_e32 v41, v28, v47
	v_lshl_add_u32 v47, v13, 1, 0
	v_pack_b32_f16 v0, v64, v0
	v_pack_b32_f16 v13, v62, v63
	ds_write2_b32 v47, v13, v0 offset1:1
	v_pack_b32_f16 v0, v17, v20
	ds_write_b32 v47, v0 offset:8
	v_mul_i32_i24_e32 v0, 6, v8
	v_lshl_add_u32 v0, v0, 1, 0
	v_pack_b32_f16 v13, v61, v18
	v_pack_b32_f16 v17, v58, v59
	ds_write2_b32 v0, v17, v13 offset1:1
	v_pack_b32_f16 v13, v15, v60
	ds_write_b32 v0, v13 offset:8
	v_mul_i32_i24_e32 v13, 6, v10
	v_fma_f16 v53, v42, -0.5, v37
	v_lshl_add_u32 v13, v13, 1, 0
	v_pack_b32_f16 v6, v6, v14
	v_add_f16_e32 v30, v34, v57
	v_sub_f16_e32 v34, v34, v57
	v_add_f16_e32 v19, v19, v52
	v_add_f16_e32 v52, v21, v50
	;; [unrolled: 1-line block ×3, first 2 shown]
	v_pack_b32_f16 v15, v56, v25
	v_pack_b32_f16 v17, v54, v55
	ds_write_b32 v13, v6 offset:8
	v_mul_i32_i24_e32 v6, 6, v12
	v_sub_f16_e32 v21, v21, v50
	v_sub_f16_e32 v16, v16, v53
	ds_write2_b32 v13, v17, v15 offset1:1
	v_lshl_add_u32 v15, v6, 1, 0
	v_pack_b32_f16 v6, v57, v65
	v_pack_b32_f16 v14, v48, v52
	v_add_f16_e32 v37, v19, v51
	v_sub_f16_e32 v42, v19, v51
	ds_write2_b32 v15, v14, v6 offset1:1
	v_pack_b32_f16 v6, v21, v16
	v_mad_i32_i24 v14, v7, -10, v47
	v_lshl_add_u32 v16, v9, 1, 0
	v_mad_i32_i24 v18, v8, -10, v0
	v_mad_i32_i24 v19, v10, -10, v13
	;; [unrolled: 1-line block ×3, first 2 shown]
	v_pack_b32_f16 v45, v45, v46
	v_pack_b32_f16 v43, v43, v44
	;; [unrolled: 1-line block ×4, first 2 shown]
	s_load_dwordx2 s[4:5], s[4:5], 0x0
	ds_write_b32 v15, v6 offset:8
	s_waitcnt lgkmcnt(0)
	s_barrier
	ds_read_u16 v25, v14
	ds_read_u16 v62, v16
	ds_read_u16 v63, v14 offset:2304
	ds_read_u16 v66, v14 offset:3456
	ds_read_u16 v67, v14 offset:4608
	ds_read_u16 v69, v14 offset:5760
	ds_read_u16 v21, v18
	ds_read_u16 v60, v14 offset:1440
	ds_read_u16 v61, v14 offset:2592
	ds_read_u16 v59, v14 offset:3744
	ds_read_u16 v58, v14 offset:4896
	ds_read_u16 v57, v14 offset:6048
	ds_read_u16 v20, v19
	ds_read_u16 v56, v14 offset:1728
	;; [unrolled: 6-line block ×3, first 2 shown]
	ds_read_u16 v51, v14 offset:3168
	ds_read_u16 v48, v14 offset:4320
	;; [unrolled: 1-line block ×4, first 2 shown]
	s_waitcnt lgkmcnt(0)
	s_barrier
	ds_write2_b32 v47, v43, v45 offset1:1
	ds_write_b32 v47, v23 offset:8
	v_pack_b32_f16 v23, v31, v33
	v_pack_b32_f16 v24, v26, v27
	ds_write_b32 v0, v5 offset:8
	v_pack_b32_f16 v5, v32, v36
	v_pack_b32_f16 v22, v29, v30
	ds_write2_b32 v0, v24, v23 offset1:1
	ds_write2_b32 v13, v22, v5 offset1:1
	v_pack_b32_f16 v5, v34, v35
	ds_write_b32 v13, v5 offset:8
	v_pack_b32_f16 v5, v39, v42
	v_pack_b32_f16 v22, v37, v38
	ds_write2_b32 v15, v22, v5 offset1:1
	v_pack_b32_f16 v5, v40, v41
	s_movk_i32 s6, 0xab
	ds_write_b32 v15, v5 offset:8
	v_mul_lo_u16_sdwa v5, v7, s6 dst_sel:DWORD dst_unused:UNUSED_PAD src0_sel:BYTE_0 src1_sel:DWORD
	v_lshrrev_b16_e32 v22, 10, v5
	v_mul_lo_u16_e32 v5, 6, v22
	v_sub_u16_e32 v23, v7, v5
	v_mov_b32_e32 v5, 5
	v_mul_u32_u24_sdwa v37, v23, v5 dst_sel:DWORD dst_unused:UNUSED_PAD src0_sel:BYTE_0 src1_sel:DWORD
	v_lshlrev_b32_e32 v47, 2, v37
	s_waitcnt lgkmcnt(0)
	s_barrier
	ds_read_u16 v35, v14
	ds_read_u16 v26, v16
	ds_read_u16 v27, v14 offset:2304
	ds_read_u16 v30, v14 offset:3456
	ds_read_u16 v31, v14 offset:4608
	ds_read_u16 v33, v14 offset:5760
	ds_read_u16 v32, v18
	ds_read_u16 v34, v14 offset:1440
	ds_read_u16 v38, v14 offset:2592
	ds_read_u16 v39, v14 offset:3744
	ds_read_u16 v46, v14 offset:4896
	ds_read_u16 v73, v14 offset:6048
	ds_read_u16 v29, v19
	ds_read_u16 v74, v14 offset:1728
	;; [unrolled: 6-line block ×3, first 2 shown]
	ds_read_u16 v80, v14 offset:3168
	ds_read_u16 v81, v14 offset:4320
	;; [unrolled: 1-line block ×4, first 2 shown]
	global_load_dwordx4 v[42:45], v47, s[12:13]
	s_mov_b32 s6, 0xaaab
	v_mul_u32_u24_e32 v22, 0x48, v22
	s_mov_b32 s7, 0xe38f
	s_waitcnt vmcnt(0) lgkmcnt(14)
	v_mul_f16_sdwa v37, v26, v42 dst_sel:DWORD dst_unused:UNUSED_PAD src0_sel:DWORD src1_sel:WORD_1
	v_fma_f16 v41, v62, v42, v37
	v_mul_f16_sdwa v37, v62, v42 dst_sel:DWORD dst_unused:UNUSED_PAD src0_sel:DWORD src1_sel:WORD_1
	v_fma_f16 v37, v26, v42, -v37
	v_mul_f16_sdwa v26, v27, v43 dst_sel:DWORD dst_unused:UNUSED_PAD src0_sel:DWORD src1_sel:WORD_1
	v_fma_f16 v64, v63, v43, v26
	v_mul_f16_sdwa v26, v63, v43 dst_sel:DWORD dst_unused:UNUSED_PAD src0_sel:DWORD src1_sel:WORD_1
	v_fma_f16 v65, v27, v43, -v26
	;; [unrolled: 4-line block ×4, first 2 shown]
	global_load_dword v26, v47, s[12:13] offset:16
	s_waitcnt vmcnt(0)
	v_mul_f16_sdwa v27, v33, v26 dst_sel:DWORD dst_unused:UNUSED_PAD src0_sel:DWORD src1_sel:WORD_1
	v_fma_f16 v45, v69, v26, v27
	v_mul_f16_sdwa v27, v69, v26 dst_sel:DWORD dst_unused:UNUSED_PAD src0_sel:DWORD src1_sel:WORD_1
	v_fma_f16 v63, v33, v26, -v27
	v_mul_u32_u24_sdwa v26, v8, s6 dst_sel:DWORD dst_unused:UNUSED_PAD src0_sel:WORD_0 src1_sel:DWORD
	v_lshrrev_b32_e32 v26, 18, v26
	v_mul_lo_u16_e32 v27, 6, v26
	v_sub_u16_e32 v27, v8, v27
	v_mul_u32_u24_e32 v30, 5, v27
	v_lshlrev_b32_e32 v30, 2, v30
	global_load_dwordx4 v[69:72], v30, s[12:13]
	s_waitcnt vmcnt(0)
	v_mul_f16_sdwa v31, v34, v69 dst_sel:DWORD dst_unused:UNUSED_PAD src0_sel:DWORD src1_sel:WORD_1
	global_load_dword v30, v30, s[12:13] offset:16
	v_fma_f16 v62, v60, v69, v31
	v_mul_f16_sdwa v31, v60, v69 dst_sel:DWORD dst_unused:UNUSED_PAD src0_sel:DWORD src1_sel:WORD_1
	v_fma_f16 v60, v34, v69, -v31
	v_mul_f16_sdwa v31, v38, v70 dst_sel:DWORD dst_unused:UNUSED_PAD src0_sel:DWORD src1_sel:WORD_1
	v_fma_f16 v83, v61, v70, v31
	v_mul_f16_sdwa v31, v61, v70 dst_sel:DWORD dst_unused:UNUSED_PAD src0_sel:DWORD src1_sel:WORD_1
	v_fma_f16 v84, v38, v70, -v31
	v_mul_f16_sdwa v31, v39, v71 dst_sel:DWORD dst_unused:UNUSED_PAD src0_sel:DWORD src1_sel:WORD_1
	v_fma_f16 v47, v59, v71, v31
	v_mul_f16_sdwa v31, v59, v71 dst_sel:DWORD dst_unused:UNUSED_PAD src0_sel:DWORD src1_sel:WORD_1
	v_fma_f16 v59, v39, v71, -v31
	s_waitcnt lgkmcnt(13)
	v_mul_f16_sdwa v31, v46, v72 dst_sel:DWORD dst_unused:UNUSED_PAD src0_sel:DWORD src1_sel:WORD_1
	v_fma_f16 v85, v58, v72, v31
	v_mul_f16_sdwa v31, v58, v72 dst_sel:DWORD dst_unused:UNUSED_PAD src0_sel:DWORD src1_sel:WORD_1
	v_fma_f16 v86, v46, v72, -v31
	s_waitcnt vmcnt(0) lgkmcnt(12)
	v_mul_f16_sdwa v31, v73, v30 dst_sel:DWORD dst_unused:UNUSED_PAD src0_sel:DWORD src1_sel:WORD_1
	v_fma_f16 v58, v57, v30, v31
	v_mul_f16_sdwa v31, v57, v30 dst_sel:DWORD dst_unused:UNUSED_PAD src0_sel:DWORD src1_sel:WORD_1
	v_fma_f16 v61, v73, v30, -v31
	v_mul_u32_u24_sdwa v30, v10, s6 dst_sel:DWORD dst_unused:UNUSED_PAD src0_sel:WORD_0 src1_sel:DWORD
	v_lshrrev_b32_e32 v30, 18, v30
	v_mul_lo_u16_e32 v31, 6, v30
	v_sub_u16_e32 v31, v10, v31
	v_mul_u32_u24_e32 v33, 5, v31
	v_lshlrev_b32_e32 v33, 2, v33
	global_load_dwordx4 v[69:72], v33, s[12:13]
	s_waitcnt vmcnt(0) lgkmcnt(10)
	v_mul_f16_sdwa v34, v74, v69 dst_sel:DWORD dst_unused:UNUSED_PAD src0_sel:DWORD src1_sel:WORD_1
	global_load_dword v33, v33, s[12:13] offset:16
	v_fma_f16 v57, v56, v69, v34
	v_mul_f16_sdwa v34, v56, v69 dst_sel:DWORD dst_unused:UNUSED_PAD src0_sel:DWORD src1_sel:WORD_1
	v_fma_f16 v56, v74, v69, -v34
	s_waitcnt lgkmcnt(9)
	v_mul_f16_sdwa v34, v75, v70 dst_sel:DWORD dst_unused:UNUSED_PAD src0_sel:DWORD src1_sel:WORD_1
	v_fma_f16 v67, v54, v70, v34
	v_mul_f16_sdwa v34, v54, v70 dst_sel:DWORD dst_unused:UNUSED_PAD src0_sel:DWORD src1_sel:WORD_1
	v_fma_f16 v69, v75, v70, -v34
	s_waitcnt lgkmcnt(8)
	v_mul_f16_sdwa v34, v76, v71 dst_sel:DWORD dst_unused:UNUSED_PAD src0_sel:DWORD src1_sel:WORD_1
	;; [unrolled: 5-line block ×3, first 2 shown]
	v_fma_f16 v55, v53, v72, v34
	v_mul_f16_sdwa v34, v53, v72 dst_sel:DWORD dst_unused:UNUSED_PAD src0_sel:DWORD src1_sel:WORD_1
	v_fma_f16 v53, v77, v72, -v34
	s_waitcnt vmcnt(0) lgkmcnt(6)
	v_mul_f16_sdwa v34, v78, v33 dst_sel:DWORD dst_unused:UNUSED_PAD src0_sel:DWORD src1_sel:WORD_1
	v_fma_f16 v74, v52, v33, v34
	v_mul_f16_sdwa v34, v52, v33 dst_sel:DWORD dst_unused:UNUSED_PAD src0_sel:DWORD src1_sel:WORD_1
	v_fma_f16 v75, v78, v33, -v34
	v_mul_u32_u24_sdwa v33, v12, s6 dst_sel:DWORD dst_unused:UNUSED_PAD src0_sel:WORD_0 src1_sel:DWORD
	v_lshrrev_b32_e32 v33, 18, v33
	v_mul_lo_u16_e32 v34, 6, v33
	v_sub_u16_e32 v34, v12, v34
	v_mul_u32_u24_e32 v38, 5, v34
	v_lshlrev_b32_e32 v76, 2, v38
	global_load_dwordx4 v[70:73], v76, s[12:13]
	s_movk_i32 s6, 0x48
	s_waitcnt vmcnt(0) lgkmcnt(4)
	v_mul_f16_sdwa v38, v79, v70 dst_sel:DWORD dst_unused:UNUSED_PAD src0_sel:DWORD src1_sel:WORD_1
	v_fma_f16 v42, v50, v70, v38
	v_mul_f16_sdwa v38, v50, v70 dst_sel:DWORD dst_unused:UNUSED_PAD src0_sel:DWORD src1_sel:WORD_1
	v_fma_f16 v39, v79, v70, -v38
	s_waitcnt lgkmcnt(3)
	v_mul_f16_sdwa v38, v80, v71 dst_sel:DWORD dst_unused:UNUSED_PAD src0_sel:DWORD src1_sel:WORD_1
	v_fma_f16 v50, v51, v71, v38
	v_mul_f16_sdwa v38, v51, v71 dst_sel:DWORD dst_unused:UNUSED_PAD src0_sel:DWORD src1_sel:WORD_1
	v_fma_f16 v51, v80, v71, -v38
	s_waitcnt lgkmcnt(2)
	v_mul_f16_sdwa v38, v81, v72 dst_sel:DWORD dst_unused:UNUSED_PAD src0_sel:DWORD src1_sel:WORD_1
	v_fma_f16 v38, v48, v72, v38
	v_mul_f16_sdwa v46, v48, v72 dst_sel:DWORD dst_unused:UNUSED_PAD src0_sel:DWORD src1_sel:WORD_1
	s_waitcnt lgkmcnt(1)
	v_mul_f16_sdwa v48, v82, v73 dst_sel:DWORD dst_unused:UNUSED_PAD src0_sel:DWORD src1_sel:WORD_1
	v_fma_f16 v52, v49, v73, v48
	v_mul_f16_sdwa v48, v49, v73 dst_sel:DWORD dst_unused:UNUSED_PAD src0_sel:DWORD src1_sel:WORD_1
	v_fma_f16 v49, v82, v73, -v48
	global_load_dword v48, v76, s[12:13] offset:16
	v_fma_f16 v46, v81, v72, -v46
	s_waitcnt vmcnt(0) lgkmcnt(0)
	s_barrier
	v_mul_f16_sdwa v70, v36, v48 dst_sel:DWORD dst_unused:UNUSED_PAD src0_sel:DWORD src1_sel:WORD_1
	v_fma_f16 v70, v28, v48, v70
	v_mul_f16_sdwa v28, v28, v48 dst_sel:DWORD dst_unused:UNUSED_PAD src0_sel:DWORD src1_sel:WORD_1
	v_fma_f16 v36, v36, v48, -v28
	v_add_f16_e32 v28, v25, v64
	v_add_f16_e32 v48, v28, v66
	v_add_f16_e32 v28, v64, v66
	v_fma_f16 v25, v28, -0.5, v25
	v_sub_f16_e32 v28, v65, v68
	v_fma_f16 v71, v28, s1, v25
	v_fma_f16 v25, v28, s0, v25
	v_add_f16_e32 v28, v35, v65
	v_add_f16_e32 v72, v28, v68
	v_add_f16_e32 v28, v65, v68
	v_fma_f16 v28, v28, -0.5, v35
	v_sub_f16_e32 v35, v64, v66
	v_fma_f16 v64, v35, s0, v28
	v_fma_f16 v35, v35, s1, v28
	;; [unrolled: 7-line block ×4, first 2 shown]
	v_mul_f16_e32 v28, 0xbaee, v40
	v_mul_f16_e32 v37, 0.5, v40
	v_mul_f16_e32 v40, -0.5, v43
	v_add_f16_e32 v63, v48, v65
	v_fma_f16 v45, v66, 0.5, v28
	v_fma_f16 v78, v41, s0, v40
	v_sub_f16_e32 v65, v48, v65
	v_add_f16_e32 v48, v83, v85
	v_add_f16_e32 v73, v71, v45
	v_fma_f16 v66, v66, s0, v37
	v_add_f16_e32 v40, v35, v78
	v_sub_f16_e32 v71, v71, v45
	v_sub_f16_e32 v45, v35, v78
	v_add_f16_e32 v35, v21, v83
	v_fma_f16 v21, v48, -0.5, v21
	v_sub_f16_e32 v48, v84, v86
	v_mul_f16_e32 v28, 0xbaee, v43
	v_add_f16_e32 v37, v64, v66
	v_sub_f16_e32 v43, v64, v66
	v_fma_f16 v64, v48, s1, v21
	v_fma_f16 v21, v48, s0, v21
	v_add_f16_e32 v48, v32, v84
	v_add_f16_e32 v66, v48, v86
	;; [unrolled: 1-line block ×3, first 2 shown]
	v_fma_f16 v32, v48, -0.5, v32
	v_sub_f16_e32 v48, v83, v85
	v_fma_f16 v76, v41, -0.5, v28
	v_add_f16_e32 v28, v72, v68
	v_sub_f16_e32 v41, v72, v68
	v_fma_f16 v68, v48, s0, v32
	v_fma_f16 v72, v48, s1, v32
	v_add_f16_e32 v32, v62, v47
	v_add_f16_e32 v77, v25, v76
	v_sub_f16_e32 v25, v25, v76
	v_add_f16_e32 v76, v32, v58
	v_add_f16_e32 v32, v47, v58
	v_fma_f16 v32, v32, -0.5, v62
	v_sub_f16_e32 v48, v59, v61
	v_fma_f16 v62, v48, s1, v32
	v_fma_f16 v48, v48, s0, v32
	v_add_f16_e32 v32, v60, v59
	v_add_f16_e32 v78, v32, v61
	;; [unrolled: 1-line block ×3, first 2 shown]
	v_fma_f16 v32, v32, -0.5, v60
	v_sub_f16_e32 v47, v47, v58
	v_fma_f16 v58, v47, s0, v32
	v_fma_f16 v59, v47, s1, v32
	v_mul_f16_e32 v32, 0xbaee, v58
	v_fma_f16 v61, v62, 0.5, v32
	v_mul_f16_e32 v32, 0xbaee, v59
	v_mul_f16_e32 v47, 0.5, v58
	v_fma_f16 v80, v48, -0.5, v32
	v_add_f16_e32 v32, v66, v78
	v_fma_f16 v58, v62, s0, v47
	v_sub_f16_e32 v62, v66, v78
	v_add_f16_e32 v66, v67, v55
	v_add_f16_e32 v79, v64, v61
	v_sub_f16_e32 v61, v64, v61
	v_add_f16_e32 v64, v20, v67
	v_fma_f16 v20, v66, -0.5, v20
	v_sub_f16_e32 v66, v69, v53
	v_add_f16_e32 v47, v68, v58
	v_sub_f16_e32 v58, v68, v58
	v_fma_f16 v68, v66, s1, v20
	v_fma_f16 v20, v66, s0, v20
	v_add_f16_e32 v66, v29, v69
	v_add_f16_e32 v66, v66, v53
	;; [unrolled: 1-line block ×3, first 2 shown]
	v_fma_f16 v29, v53, -0.5, v29
	v_sub_f16_e32 v53, v67, v55
	v_add_f16_e32 v67, v44, v74
	v_add_f16_e32 v64, v64, v55
	v_fma_f16 v55, v53, s0, v29
	v_fma_f16 v29, v53, s1, v29
	v_add_f16_e32 v53, v57, v44
	v_fma_f16 v57, v67, -0.5, v57
	v_sub_f16_e32 v67, v54, v75
	v_fma_f16 v69, v67, s1, v57
	v_fma_f16 v57, v67, s0, v57
	v_add_f16_e32 v67, v56, v54
	v_add_f16_e32 v54, v54, v75
	v_mul_f16_e32 v59, -0.5, v59
	v_fma_f16 v54, v54, -0.5, v56
	v_sub_f16_e32 v44, v44, v74
	v_fma_f16 v59, v48, s0, v59
	v_fma_f16 v56, v44, s0, v54
	v_add_f16_e32 v48, v72, v59
	v_sub_f16_e32 v59, v72, v59
	v_fma_f16 v44, v44, s1, v54
	v_mul_f16_e32 v72, 0xbaee, v56
	v_mul_f16_e32 v56, 0.5, v56
	v_add_f16_e32 v67, v67, v75
	v_mul_f16_e32 v75, 0xbaee, v44
	v_fma_f16 v56, v69, s0, v56
	v_mul_f16_e32 v44, -0.5, v44
	v_fma_f16 v72, v69, 0.5, v72
	v_add_f16_e32 v69, v55, v56
	v_fma_f16 v44, v57, s0, v44
	v_sub_f16_e32 v56, v55, v56
	v_add_f16_e32 v55, v50, v52
	v_fma_f16 v75, v57, -0.5, v75
	v_add_f16_e32 v57, v29, v44
	v_sub_f16_e32 v29, v29, v44
	v_add_f16_e32 v44, v6, v50
	v_fma_f16 v6, v55, -0.5, v6
	v_sub_f16_e32 v55, v51, v49
	v_add_f16_e32 v78, v66, v67
	v_sub_f16_e32 v66, v66, v67
	v_fma_f16 v67, v55, s1, v6
	v_fma_f16 v6, v55, s0, v6
	v_add_f16_e32 v55, v24, v51
	v_add_f16_e32 v55, v55, v49
	;; [unrolled: 1-line block ×3, first 2 shown]
	v_fma_f16 v24, v49, -0.5, v24
	v_sub_f16_e32 v49, v50, v52
	v_add_f16_e32 v51, v38, v70
	v_fma_f16 v50, v49, s0, v24
	v_fma_f16 v24, v49, s1, v24
	v_add_f16_e32 v49, v42, v38
	v_fma_f16 v42, v51, -0.5, v42
	v_sub_f16_e32 v51, v46, v36
	v_add_f16_e32 v44, v44, v52
	v_fma_f16 v52, v51, s1, v42
	v_fma_f16 v42, v51, s0, v42
	v_add_f16_e32 v51, v39, v46
	v_add_f16_e32 v51, v51, v36
	;; [unrolled: 1-line block ×3, first 2 shown]
	v_fma_f16 v36, v36, -0.5, v39
	v_sub_f16_e32 v38, v38, v70
	v_fma_f16 v39, v38, s0, v36
	v_fma_f16 v36, v38, s1, v36
	v_add_f16_e32 v49, v49, v70
	v_mul_f16_e32 v46, 0xbaee, v39
	v_mul_f16_e32 v70, 0xbaee, v36
	v_add_f16_e32 v53, v53, v74
	v_fma_f16 v46, v52, 0.5, v46
	v_fma_f16 v70, v42, -0.5, v70
	v_mul_f16_e32 v36, -0.5, v36
	v_add_f16_e32 v54, v64, v53
	v_add_f16_e32 v74, v68, v72
	v_sub_f16_e32 v53, v64, v53
	v_sub_f16_e32 v64, v68, v72
	v_add_f16_e32 v38, v44, v49
	v_add_f16_e32 v68, v67, v46
	;; [unrolled: 1-line block ×3, first 2 shown]
	v_fma_f16 v36, v42, s0, v36
	v_sub_f16_e32 v42, v44, v49
	v_sub_f16_e32 v44, v67, v46
	;; [unrolled: 1-line block ×3, first 2 shown]
	v_mov_b32_e32 v6, 1
	v_lshlrev_b32_sdwa v23, v6, v23 dst_sel:DWORD dst_unused:UNUSED_PAD src0_sel:DWORD src1_sel:BYTE_0
	v_add3_u32 v22, 0, v22, v23
	v_add_f16_e32 v35, v35, v85
	ds_write_b16 v22, v63
	ds_write_b16 v22, v73 offset:12
	ds_write_b16 v22, v77 offset:24
	;; [unrolled: 1-line block ×5, first 2 shown]
	v_mul_u32_u24_e32 v23, 0x48, v26
	v_lshlrev_b32_e32 v25, 1, v27
	v_add_f16_e32 v60, v35, v76
	v_add_f16_e32 v81, v21, v80
	v_sub_f16_e32 v21, v21, v80
	v_add3_u32 v23, 0, v23, v25
	v_sub_f16_e32 v35, v35, v76
	ds_write_b16 v23, v60
	ds_write_b16 v23, v79 offset:12
	ds_write_b16 v23, v81 offset:24
	;; [unrolled: 1-line block ×5, first 2 shown]
	v_mul_u32_u24_e32 v21, 0x48, v30
	v_lshlrev_b32_e32 v25, 1, v31
	v_add_f16_e32 v76, v20, v75
	v_sub_f16_e32 v20, v20, v75
	v_add3_u32 v26, 0, v21, v25
	v_mul_f16_e32 v39, 0.5, v39
	ds_write_b16 v26, v54
	ds_write_b16 v26, v74 offset:12
	ds_write_b16 v26, v76 offset:24
	;; [unrolled: 1-line block ×5, first 2 shown]
	v_mul_u32_u24_e32 v20, 0x48, v33
	v_lshlrev_b32_e32 v21, 1, v34
	v_fma_f16 v39, v52, s0, v39
	v_add3_u32 v30, 0, v20, v21
	v_add_f16_e32 v75, v55, v51
	v_add_f16_e32 v52, v50, v39
	;; [unrolled: 1-line block ×3, first 2 shown]
	v_sub_f16_e32 v49, v55, v51
	v_sub_f16_e32 v50, v50, v39
	;; [unrolled: 1-line block ×3, first 2 shown]
	ds_write_b16 v30, v38
	ds_write_b16 v30, v68 offset:12
	ds_write_b16 v30, v72 offset:24
	;; [unrolled: 1-line block ×5, first 2 shown]
	s_waitcnt lgkmcnt(0)
	s_barrier
	ds_read_u16 v27, v14
	ds_read_u16 v46, v16
	ds_read_u16 v54, v14 offset:2304
	ds_read_u16 v60, v14 offset:3456
	ds_read_u16 v61, v14 offset:4608
	ds_read_u16 v65, v14 offset:5760
	ds_read_u16 v25, v18
	ds_read_u16 v72, v14 offset:1440
	ds_read_u16 v73, v14 offset:2592
	ds_read_u16 v74, v14 offset:3744
	ds_read_u16 v76, v14 offset:4896
	ds_read_u16 v77, v14 offset:6048
	ds_read_u16 v21, v19
	ds_read_u16 v44, v14 offset:1728
	;; [unrolled: 6-line block ×3, first 2 shown]
	ds_read_u16 v38, v14 offset:3168
	ds_read_u16 v36, v14 offset:4320
	;; [unrolled: 1-line block ×4, first 2 shown]
	s_waitcnt lgkmcnt(0)
	s_barrier
	ds_write_b16 v22, v28
	ds_write_b16 v22, v37 offset:12
	ds_write_b16 v22, v40 offset:24
	ds_write_b16 v22, v41 offset:36
	ds_write_b16 v22, v43 offset:48
	ds_write_b16 v22, v45 offset:60
	ds_write_b16 v23, v32
	ds_write_b16 v23, v47 offset:12
	ds_write_b16 v23, v48 offset:24
	ds_write_b16 v23, v62 offset:36
	ds_write_b16 v23, v58 offset:48
	ds_write_b16 v23, v59 offset:60
	ds_write_b16 v26, v78
	ds_write_b16 v26, v69 offset:12
	ds_write_b16 v26, v57 offset:24
	ds_write_b16 v26, v66 offset:36
	ds_write_b16 v26, v56 offset:48
	ds_write_b16 v26, v29 offset:60
	ds_write_b16 v30, v75
	ds_write_b16 v30, v52 offset:12
	ds_write_b16 v30, v80 offset:24
	ds_write_b16 v30, v49 offset:36
	ds_write_b16 v30, v50 offset:48
	ds_write_b16 v30, v24 offset:60
	v_mov_b32_e32 v22, 57
	v_mul_lo_u16_sdwa v22, v7, v22 dst_sel:DWORD dst_unused:UNUSED_PAD src0_sel:BYTE_0 src1_sel:DWORD
	v_lshrrev_b16_e32 v23, 11, v22
	v_mul_lo_u16_e32 v22, 36, v23
	v_sub_u16_e32 v22, v7, v22
	v_mul_u32_u24_sdwa v5, v22, v5 dst_sel:DWORD dst_unused:UNUSED_PAD src0_sel:BYTE_0 src1_sel:DWORD
	v_lshlrev_b32_e32 v5, 2, v5
	s_waitcnt lgkmcnt(0)
	s_barrier
	ds_read_u16 v37, v14
	ds_read_u16 v26, v16
	ds_read_u16 v29, v14 offset:2304
	ds_read_u16 v30, v14 offset:3456
	ds_read_u16 v41, v14 offset:4608
	ds_read_u16 v43, v14 offset:5760
	ds_read_u16 v32, v18
	ds_read_u16 v48, v14 offset:1440
	ds_read_u16 v57, v14 offset:2592
	ds_read_u16 v62, v14 offset:3744
	ds_read_u16 v66, v14 offset:4896
	ds_read_u16 v75, v14 offset:6048
	ds_read_u16 v28, v19
	ds_read_u16 v78, v14 offset:1728
	;; [unrolled: 6-line block ×3, first 2 shown]
	ds_read_u16 v84, v14 offset:3168
	ds_read_u16 v85, v14 offset:4320
	;; [unrolled: 1-line block ×4, first 2 shown]
	global_load_dwordx4 v[50:53], v5, s[12:13] offset:120
	v_mul_u32_u24_e32 v23, 0x1b0, v23
	global_load_dword v5, v5, s[12:13] offset:136
	v_lshlrev_b32_sdwa v6, v6, v22 dst_sel:DWORD dst_unused:UNUSED_PAD src0_sel:DWORD src1_sel:BYTE_0
	v_add3_u32 v6, 0, v23, v6
	s_waitcnt vmcnt(1) lgkmcnt(14)
	v_mul_f16_sdwa v45, v26, v50 dst_sel:DWORD dst_unused:UNUSED_PAD src0_sel:DWORD src1_sel:WORD_1
	v_fma_f16 v49, v46, v50, v45
	v_mul_f16_sdwa v45, v46, v50 dst_sel:DWORD dst_unused:UNUSED_PAD src0_sel:DWORD src1_sel:WORD_1
	v_fma_f16 v45, v26, v50, -v45
	v_mul_f16_sdwa v26, v29, v51 dst_sel:DWORD dst_unused:UNUSED_PAD src0_sel:DWORD src1_sel:WORD_1
	v_fma_f16 v59, v54, v51, v26
	v_mul_f16_sdwa v26, v54, v51 dst_sel:DWORD dst_unused:UNUSED_PAD src0_sel:DWORD src1_sel:WORD_1
	v_fma_f16 v63, v29, v51, -v26
	;; [unrolled: 4-line block ×4, first 2 shown]
	s_waitcnt vmcnt(0)
	v_mul_f16_sdwa v26, v43, v5 dst_sel:DWORD dst_unused:UNUSED_PAD src0_sel:DWORD src1_sel:WORD_1
	v_fma_f16 v54, v65, v5, v26
	v_mul_f16_sdwa v26, v65, v5 dst_sel:DWORD dst_unused:UNUSED_PAD src0_sel:DWORD src1_sel:WORD_1
	v_fma_f16 v58, v43, v5, -v26
	v_mul_u32_u24_sdwa v5, v8, s7 dst_sel:DWORD dst_unused:UNUSED_PAD src0_sel:WORD_0 src1_sel:DWORD
	v_lshrrev_b32_e32 v5, 21, v5
	v_mul_lo_u16_e32 v26, 36, v5
	v_sub_u16_e32 v26, v8, v26
	v_mul_u32_u24_e32 v29, 5, v26
	v_lshlrev_b32_e32 v29, 2, v29
	global_load_dwordx4 v[68:71], v29, s[12:13] offset:120
	v_mul_u32_u24_e32 v5, 0x1b0, v5
	global_load_dword v29, v29, s[12:13] offset:136
	v_lshlrev_b32_e32 v22, 1, v26
	v_add3_u32 v5, 0, v5, v22
	s_waitcnt vmcnt(1)
	v_mul_f16_sdwa v30, v48, v68 dst_sel:DWORD dst_unused:UNUSED_PAD src0_sel:DWORD src1_sel:WORD_1
	v_fma_f16 v56, v72, v68, v30
	v_mul_f16_sdwa v30, v72, v68 dst_sel:DWORD dst_unused:UNUSED_PAD src0_sel:DWORD src1_sel:WORD_1
	v_fma_f16 v51, v48, v68, -v30
	v_mul_f16_sdwa v30, v57, v69 dst_sel:DWORD dst_unused:UNUSED_PAD src0_sel:DWORD src1_sel:WORD_1
	v_fma_f16 v87, v73, v69, v30
	v_mul_f16_sdwa v30, v73, v69 dst_sel:DWORD dst_unused:UNUSED_PAD src0_sel:DWORD src1_sel:WORD_1
	v_fma_f16 v73, v57, v69, -v30
	;; [unrolled: 4-line block ×3, first 2 shown]
	s_waitcnt lgkmcnt(13)
	v_mul_f16_sdwa v30, v66, v71 dst_sel:DWORD dst_unused:UNUSED_PAD src0_sel:DWORD src1_sel:WORD_1
	v_fma_f16 v74, v76, v71, v30
	v_mul_f16_sdwa v30, v76, v71 dst_sel:DWORD dst_unused:UNUSED_PAD src0_sel:DWORD src1_sel:WORD_1
	v_fma_f16 v76, v66, v71, -v30
	s_waitcnt vmcnt(0) lgkmcnt(12)
	v_mul_f16_sdwa v30, v75, v29 dst_sel:DWORD dst_unused:UNUSED_PAD src0_sel:DWORD src1_sel:WORD_1
	v_fma_f16 v53, v77, v29, v30
	v_mul_f16_sdwa v30, v77, v29 dst_sel:DWORD dst_unused:UNUSED_PAD src0_sel:DWORD src1_sel:WORD_1
	v_fma_f16 v62, v75, v29, -v30
	v_mul_u32_u24_sdwa v29, v10, s7 dst_sel:DWORD dst_unused:UNUSED_PAD src0_sel:WORD_0 src1_sel:DWORD
	v_lshrrev_b32_e32 v29, 21, v29
	v_mul_lo_u16_e32 v30, 36, v29
	v_sub_u16_e32 v30, v10, v30
	v_mul_u32_u24_e32 v41, 5, v30
	v_lshlrev_b32_e32 v41, 2, v41
	global_load_dwordx4 v[68:71], v41, s[12:13] offset:120
	v_mul_u32_u24_e32 v22, 0x1b0, v29
	v_lshlrev_b32_e32 v23, 1, v30
	s_waitcnt vmcnt(0) lgkmcnt(10)
	v_mul_f16_sdwa v43, v78, v68 dst_sel:DWORD dst_unused:UNUSED_PAD src0_sel:DWORD src1_sel:WORD_1
	v_fma_f16 v50, v44, v68, v43
	v_mul_f16_sdwa v43, v44, v68 dst_sel:DWORD dst_unused:UNUSED_PAD src0_sel:DWORD src1_sel:WORD_1
	v_fma_f16 v48, v78, v68, -v43
	s_waitcnt lgkmcnt(9)
	v_mul_f16_sdwa v43, v79, v69 dst_sel:DWORD dst_unused:UNUSED_PAD src0_sel:DWORD src1_sel:WORD_1
	v_fma_f16 v66, v34, v69, v43
	v_mul_f16_sdwa v34, v34, v69 dst_sel:DWORD dst_unused:UNUSED_PAD src0_sel:DWORD src1_sel:WORD_1
	v_fma_f16 v68, v79, v69, -v34
	s_waitcnt lgkmcnt(8)
	;; [unrolled: 5-line block ×3, first 2 shown]
	v_mul_f16_sdwa v34, v81, v71 dst_sel:DWORD dst_unused:UNUSED_PAD src0_sel:DWORD src1_sel:WORD_1
	v_fma_f16 v75, v42, v71, v34
	v_mul_f16_sdwa v34, v42, v71 dst_sel:DWORD dst_unused:UNUSED_PAD src0_sel:DWORD src1_sel:WORD_1
	v_fma_f16 v77, v81, v71, -v34
	global_load_dword v34, v41, s[12:13] offset:136
	s_waitcnt vmcnt(0) lgkmcnt(6)
	v_mul_f16_sdwa v41, v82, v34 dst_sel:DWORD dst_unused:UNUSED_PAD src0_sel:DWORD src1_sel:WORD_1
	v_fma_f16 v78, v33, v34, v41
	v_mul_f16_sdwa v33, v33, v34 dst_sel:DWORD dst_unused:UNUSED_PAD src0_sel:DWORD src1_sel:WORD_1
	v_fma_f16 v79, v82, v34, -v33
	v_mul_u32_u24_sdwa v33, v12, s7 dst_sel:DWORD dst_unused:UNUSED_PAD src0_sel:WORD_0 src1_sel:DWORD
	v_lshrrev_b32_e32 v33, 21, v33
	v_mul_lo_u16_e32 v34, 36, v33
	v_sub_u16_e32 v34, v12, v34
	v_mul_u32_u24_e32 v41, 5, v34
	v_lshlrev_b32_e32 v80, 2, v41
	global_load_dwordx4 v[69:72], v80, s[12:13] offset:120
	s_waitcnt vmcnt(0) lgkmcnt(4)
	v_mul_f16_sdwa v41, v83, v69 dst_sel:DWORD dst_unused:UNUSED_PAD src0_sel:DWORD src1_sel:WORD_1
	v_fma_f16 v42, v35, v69, v41
	v_mul_f16_sdwa v35, v35, v69 dst_sel:DWORD dst_unused:UNUSED_PAD src0_sel:DWORD src1_sel:WORD_1
	v_fma_f16 v41, v83, v69, -v35
	s_waitcnt lgkmcnt(3)
	v_mul_f16_sdwa v35, v84, v70 dst_sel:DWORD dst_unused:UNUSED_PAD src0_sel:DWORD src1_sel:WORD_1
	v_fma_f16 v60, v38, v70, v35
	v_mul_f16_sdwa v35, v38, v70 dst_sel:DWORD dst_unused:UNUSED_PAD src0_sel:DWORD src1_sel:WORD_1
	v_fma_f16 v61, v84, v70, -v35
	s_waitcnt lgkmcnt(2)
	;; [unrolled: 5-line block ×3, first 2 shown]
	v_mul_f16_sdwa v35, v86, v72 dst_sel:DWORD dst_unused:UNUSED_PAD src0_sel:DWORD src1_sel:WORD_1
	v_fma_f16 v65, v39, v72, v35
	v_mul_f16_sdwa v35, v39, v72 dst_sel:DWORD dst_unused:UNUSED_PAD src0_sel:DWORD src1_sel:WORD_1
	v_fma_f16 v39, v86, v72, -v35
	global_load_dword v35, v80, s[12:13] offset:136
	s_waitcnt vmcnt(0) lgkmcnt(0)
	s_barrier
	v_mul_f16_sdwa v36, v40, v35 dst_sel:DWORD dst_unused:UNUSED_PAD src0_sel:DWORD src1_sel:WORD_1
	v_fma_f16 v69, v31, v35, v36
	v_mul_f16_sdwa v31, v31, v35 dst_sel:DWORD dst_unused:UNUSED_PAD src0_sel:DWORD src1_sel:WORD_1
	v_fma_f16 v31, v40, v35, -v31
	v_add_f16_e32 v35, v27, v59
	v_add_f16_e32 v40, v35, v64
	v_add_f16_e32 v35, v59, v64
	v_fma_f16 v27, v35, -0.5, v27
	v_sub_f16_e32 v35, v63, v67
	v_fma_f16 v70, v35, s1, v27
	v_fma_f16 v27, v35, s0, v27
	v_add_f16_e32 v35, v37, v63
	v_add_f16_e32 v71, v35, v67
	v_add_f16_e32 v35, v63, v67
	v_fma_f16 v35, v35, -0.5, v37
	v_sub_f16_e32 v36, v59, v64
	v_fma_f16 v59, v36, s0, v35
	v_fma_f16 v63, v36, s1, v35
	;; [unrolled: 7-line block ×4, first 2 shown]
	v_mul_f16_e32 v35, 0xbaee, v45
	v_mul_f16_e32 v36, 0.5, v45
	v_fma_f16 v54, v37, 0.5, v35
	v_mul_f16_e32 v35, 0xbaee, v47
	v_fma_f16 v45, v37, s0, v36
	v_mul_f16_e32 v37, -0.5, v47
	v_fma_f16 v72, v49, -0.5, v35
	v_fma_f16 v47, v49, s0, v37
	v_add_f16_e32 v49, v25, v87
	v_add_f16_e32 v36, v59, v45
	v_sub_f16_e32 v45, v59, v45
	v_add_f16_e32 v59, v49, v74
	v_add_f16_e32 v49, v87, v74
	v_fma_f16 v25, v49, -0.5, v25
	v_sub_f16_e32 v49, v73, v76
	v_add_f16_e32 v37, v63, v47
	v_sub_f16_e32 v47, v63, v47
	v_fma_f16 v63, v49, s1, v25
	v_fma_f16 v25, v49, s0, v25
	v_add_f16_e32 v49, v32, v73
	v_add_f16_e32 v52, v40, v64
	;; [unrolled: 1-line block ×3, first 2 shown]
	v_sub_f16_e32 v64, v40, v64
	v_sub_f16_e32 v40, v71, v67
	v_add_f16_e32 v67, v49, v76
	v_add_f16_e32 v49, v73, v76
	v_fma_f16 v32, v49, -0.5, v32
	v_sub_f16_e32 v49, v87, v74
	v_add_f16_e32 v58, v70, v54
	v_sub_f16_e32 v54, v70, v54
	v_fma_f16 v70, v49, s0, v32
	v_fma_f16 v71, v49, s1, v32
	v_add_f16_e32 v32, v56, v46
	v_add_f16_e32 v80, v27, v72
	v_sub_f16_e32 v27, v27, v72
	v_add_f16_e32 v72, v32, v53
	v_add_f16_e32 v32, v46, v53
	v_fma_f16 v32, v32, -0.5, v56
	v_sub_f16_e32 v49, v57, v62
	v_fma_f16 v56, v49, s1, v32
	v_fma_f16 v49, v49, s0, v32
	v_add_f16_e32 v32, v51, v57
	v_add_f16_e32 v73, v32, v62
	;; [unrolled: 1-line block ×3, first 2 shown]
	v_fma_f16 v32, v32, -0.5, v51
	v_sub_f16_e32 v46, v46, v53
	v_fma_f16 v51, v46, s0, v32
	v_fma_f16 v53, v46, s1, v32
	v_mul_f16_e32 v32, 0xbaee, v51
	v_fma_f16 v62, v56, 0.5, v32
	v_mul_f16_e32 v32, 0xbaee, v53
	v_mul_f16_e32 v46, 0.5, v51
	v_add_f16_e32 v57, v59, v72
	v_add_f16_e32 v74, v63, v62
	v_fma_f16 v76, v49, -0.5, v32
	v_add_f16_e32 v32, v67, v73
	v_fma_f16 v51, v56, s0, v46
	v_sub_f16_e32 v56, v59, v72
	v_sub_f16_e32 v59, v63, v62
	v_sub_f16_e32 v62, v67, v73
	v_add_f16_e32 v67, v66, v75
	v_mul_f16_e32 v53, -0.5, v53
	v_add_f16_e32 v63, v21, v66
	v_fma_f16 v21, v67, -0.5, v21
	v_sub_f16_e32 v67, v68, v77
	v_add_f16_e32 v46, v70, v51
	v_fma_f16 v53, v49, s0, v53
	v_sub_f16_e32 v51, v70, v51
	v_fma_f16 v70, v67, s1, v21
	v_fma_f16 v21, v67, s0, v21
	v_add_f16_e32 v67, v28, v68
	v_add_f16_e32 v68, v68, v77
	;; [unrolled: 1-line block ×3, first 2 shown]
	v_sub_f16_e32 v53, v71, v53
	v_fma_f16 v28, v68, -0.5, v28
	v_sub_f16_e32 v66, v66, v75
	v_add_f16_e32 v71, v43, v78
	v_fma_f16 v68, v66, s0, v28
	v_fma_f16 v28, v66, s1, v28
	v_add_f16_e32 v66, v50, v43
	v_fma_f16 v50, v71, -0.5, v50
	v_sub_f16_e32 v71, v55, v79
	v_fma_f16 v72, v71, s1, v50
	v_fma_f16 v50, v71, s0, v50
	v_add_f16_e32 v71, v48, v55
	v_add_f16_e32 v55, v55, v79
	v_fma_f16 v48, v55, -0.5, v48
	v_sub_f16_e32 v43, v43, v78
	v_fma_f16 v55, v43, s0, v48
	v_fma_f16 v43, v43, s1, v48
	v_mul_f16_e32 v73, 0xbaee, v55
	v_mul_f16_e32 v55, 0.5, v55
	v_add_f16_e32 v81, v25, v76
	v_sub_f16_e32 v25, v25, v76
	v_mul_f16_e32 v76, 0xbaee, v43
	v_fma_f16 v55, v72, s0, v55
	v_mul_f16_e32 v43, -0.5, v43
	v_fma_f16 v73, v72, 0.5, v73
	v_add_f16_e32 v72, v68, v55
	v_fma_f16 v43, v50, s0, v43
	v_sub_f16_e32 v55, v68, v55
	v_add_f16_e32 v68, v60, v65
	v_add_f16_e32 v63, v63, v75
	;; [unrolled: 1-line block ×3, first 2 shown]
	v_fma_f16 v76, v50, -0.5, v76
	v_add_f16_e32 v50, v28, v43
	v_sub_f16_e32 v28, v28, v43
	v_add_f16_e32 v43, v20, v60
	v_fma_f16 v20, v68, -0.5, v20
	v_sub_f16_e32 v68, v61, v39
	v_add_f16_e32 v48, v63, v66
	v_add_f16_e32 v75, v70, v73
	v_sub_f16_e32 v63, v63, v66
	v_sub_f16_e32 v66, v70, v73
	v_fma_f16 v70, v68, s1, v20
	v_fma_f16 v20, v68, s0, v20
	v_add_f16_e32 v68, v24, v61
	v_add_f16_e32 v68, v68, v39
	;; [unrolled: 1-line block ×3, first 2 shown]
	v_fma_f16 v24, v39, -0.5, v24
	v_sub_f16_e32 v39, v60, v65
	v_add_f16_e32 v61, v38, v69
	v_fma_f16 v60, v39, s0, v24
	v_fma_f16 v24, v39, s1, v24
	v_add_f16_e32 v39, v42, v38
	v_fma_f16 v42, v61, -0.5, v42
	v_sub_f16_e32 v61, v44, v31
	v_add_f16_e32 v43, v43, v65
	v_fma_f16 v65, v61, s1, v42
	v_fma_f16 v42, v61, s0, v42
	v_add_f16_e32 v61, v41, v44
	v_add_f16_e32 v61, v61, v31
	;; [unrolled: 1-line block ×3, first 2 shown]
	v_fma_f16 v31, v31, -0.5, v41
	v_sub_f16_e32 v38, v38, v69
	v_add_f16_e32 v67, v67, v77
	v_add_f16_e32 v71, v71, v79
	v_fma_f16 v41, v38, s0, v31
	v_fma_f16 v31, v38, s1, v31
	v_add_f16_e32 v77, v21, v76
	v_add_f16_e32 v78, v67, v71
	v_sub_f16_e32 v21, v21, v76
	v_sub_f16_e32 v67, v67, v71
	v_mul_f16_e32 v71, 0xbaee, v31
	ds_write_b16 v6, v52
	ds_write_b16 v6, v58 offset:72
	ds_write_b16 v6, v80 offset:144
	;; [unrolled: 1-line block ×5, first 2 shown]
	v_add3_u32 v52, 0, v22, v23
	v_add_f16_e32 v39, v39, v69
	v_mul_f16_e32 v44, 0xbaee, v41
	v_fma_f16 v71, v42, -0.5, v71
	ds_write_b16 v5, v57
	ds_write_b16 v5, v74 offset:72
	ds_write_b16 v5, v81 offset:144
	;; [unrolled: 1-line block ×5, first 2 shown]
	ds_write_b16 v52, v48
	ds_write_b16 v52, v75 offset:72
	ds_write_b16 v52, v77 offset:144
	;; [unrolled: 1-line block ×5, first 2 shown]
	v_mul_u32_u24_e32 v21, 0x1b0, v33
	v_lshlrev_b32_e32 v22, 1, v34
	v_add_f16_e32 v38, v43, v39
	v_fma_f16 v44, v65, 0.5, v44
	v_add_f16_e32 v73, v20, v71
	v_mul_f16_e32 v41, 0.5, v41
	v_mul_f16_e32 v31, -0.5, v31
	v_sub_f16_e32 v20, v20, v71
	v_add3_u32 v21, 0, v21, v22
	v_add_f16_e32 v69, v70, v44
	v_fma_f16 v41, v65, s0, v41
	v_fma_f16 v31, v42, s0, v31
	v_sub_f16_e32 v39, v43, v39
	v_sub_f16_e32 v42, v70, v44
	ds_write_b16 v21, v38
	ds_write_b16 v21, v69 offset:72
	ds_write_b16 v21, v73 offset:144
	;; [unrolled: 1-line block ×5, first 2 shown]
	v_lshl_add_u32 v20, v11, 1, 0
	v_add_f16_e32 v76, v68, v61
	v_add_f16_e32 v65, v60, v41
	;; [unrolled: 1-line block ×3, first 2 shown]
	v_sub_f16_e32 v43, v68, v61
	v_sub_f16_e32 v44, v60, v41
	;; [unrolled: 1-line block ×3, first 2 shown]
	s_waitcnt lgkmcnt(0)
	s_barrier
	ds_read_u16 v27, v14
	ds_read_u16 v38, v14 offset:1728
	ds_read_u16 v48, v14 offset:3456
	ds_read_u16 v54, v14 offset:5184
	ds_read_u16 v25, v18
	ds_read_u16 v56, v14 offset:2016
	ds_read_u16 v57, v14 offset:3744
	ds_read_u16 v58, v14 offset:5472
	;; [unrolled: 4-line block ×6, first 2 shown]
	s_waitcnt lgkmcnt(0)
	s_barrier
	ds_write_b16 v6, v35
	ds_write_b16 v6, v36 offset:72
	ds_write_b16 v6, v37 offset:144
	ds_write_b16 v6, v40 offset:216
	ds_write_b16 v6, v45 offset:288
	ds_write_b16 v6, v47 offset:360
	ds_write_b16 v5, v32
	ds_write_b16 v5, v46 offset:72
	ds_write_b16 v5, v49 offset:144
	ds_write_b16 v5, v62 offset:216
	ds_write_b16 v5, v51 offset:288
	ds_write_b16 v5, v53 offset:360
	;; [unrolled: 6-line block ×4, first 2 shown]
	v_mul_u32_u24_e32 v6, 3, v7
	v_lshlrev_b32_e32 v21, 2, v6
	s_waitcnt lgkmcnt(0)
	s_barrier
	ds_read_u16 v40, v14
	ds_read_u16 v5, v14 offset:1728
	ds_read_u16 v28, v14 offset:3456
	ds_read_u16 v37, v14 offset:5184
	ds_read_u16 v36, v18
	ds_read_u16 v49, v14 offset:2016
	ds_read_u16 v50, v14 offset:3744
	ds_read_u16 v51, v14 offset:5472
	;; [unrolled: 4-line block ×6, first 2 shown]
	global_load_dwordx3 v[45:47], v21, s[12:13] offset:840
	v_cmp_gt_u32_e64 s[0:1], s6, v7
	v_mov_b32_e32 v6, 0
	s_waitcnt vmcnt(0) lgkmcnt(14)
	v_mul_f16_sdwa v72, v5, v45 dst_sel:DWORD dst_unused:UNUSED_PAD src0_sel:DWORD src1_sel:WORD_1
	v_fma_f16 v72, v38, v45, v72
	v_mul_f16_sdwa v38, v38, v45 dst_sel:DWORD dst_unused:UNUSED_PAD src0_sel:DWORD src1_sel:WORD_1
	v_fma_f16 v73, v5, v45, -v38
	v_mul_f16_sdwa v5, v28, v46 dst_sel:DWORD dst_unused:UNUSED_PAD src0_sel:DWORD src1_sel:WORD_1
	v_fma_f16 v74, v48, v46, v5
	v_mul_f16_sdwa v5, v48, v46 dst_sel:DWORD dst_unused:UNUSED_PAD src0_sel:DWORD src1_sel:WORD_1
	v_fma_f16 v48, v28, v46, -v5
	;; [unrolled: 4-line block ×3, first 2 shown]
	v_add_u32_e32 v5, 0xffffffb8, v7
	v_cndmask_b32_e64 v28, v5, v8, s[0:1]
	v_mul_i32_i24_e32 v5, 3, v28
	v_lshlrev_b64 v[37:38], 2, v[5:6]
	v_mov_b32_e32 v5, s13
	v_add_co_u32_e64 v37, s[0:1], s12, v37
	v_addc_co_u32_e64 v38, s[0:1], v5, v38, s[0:1]
	global_load_dwordx3 v[45:47], v[37:38], off offset:840
	s_movk_i32 s0, 0x47
	v_cmp_lt_u32_e64 s[0:1], s0, v7
	v_lshlrev_b32_e32 v28, 1, v28
	s_waitcnt vmcnt(0)
	v_mul_f16_sdwa v5, v49, v45 dst_sel:DWORD dst_unused:UNUSED_PAD src0_sel:DWORD src1_sel:WORD_1
	v_fma_f16 v76, v56, v45, v5
	v_mul_f16_sdwa v5, v56, v45 dst_sel:DWORD dst_unused:UNUSED_PAD src0_sel:DWORD src1_sel:WORD_1
	v_fma_f16 v49, v49, v45, -v5
	v_mul_f16_sdwa v5, v50, v46 dst_sel:DWORD dst_unused:UNUSED_PAD src0_sel:DWORD src1_sel:WORD_1
	v_fma_f16 v56, v57, v46, v5
	v_mul_f16_sdwa v5, v57, v46 dst_sel:DWORD dst_unused:UNUSED_PAD src0_sel:DWORD src1_sel:WORD_1
	v_fma_f16 v77, v50, v46, -v5
	;; [unrolled: 4-line block ×3, first 2 shown]
	global_load_dwordx3 v[45:47], v21, s[12:13] offset:1704
	s_waitcnt vmcnt(0)
	v_mul_f16_sdwa v5, v52, v45 dst_sel:DWORD dst_unused:UNUSED_PAD src0_sel:DWORD src1_sel:WORD_1
	v_fma_f16 v79, v59, v45, v5
	v_mul_f16_sdwa v5, v59, v45 dst_sel:DWORD dst_unused:UNUSED_PAD src0_sel:DWORD src1_sel:WORD_1
	v_fma_f16 v59, v52, v45, -v5
	s_waitcnt lgkmcnt(13)
	v_mul_f16_sdwa v5, v53, v46 dst_sel:DWORD dst_unused:UNUSED_PAD src0_sel:DWORD src1_sel:WORD_1
	v_fma_f16 v80, v61, v46, v5
	v_mul_f16_sdwa v5, v61, v46 dst_sel:DWORD dst_unused:UNUSED_PAD src0_sel:DWORD src1_sel:WORD_1
	v_fma_f16 v61, v53, v46, -v5
	s_waitcnt lgkmcnt(12)
	v_mul_f16_sdwa v5, v55, v47 dst_sel:DWORD dst_unused:UNUSED_PAD src0_sel:DWORD src1_sel:WORD_1
	v_fma_f16 v81, v63, v47, v5
	v_mul_f16_sdwa v5, v63, v47 dst_sel:DWORD dst_unused:UNUSED_PAD src0_sel:DWORD src1_sel:WORD_1
	v_fma_f16 v63, v55, v47, -v5
	v_lshrrev_b16_e32 v5, 3, v12
	v_mul_u32_u24_e32 v5, 0x12f7, v5
	v_lshrrev_b32_e32 v5, 17, v5
	v_mul_lo_u16_e32 v5, 0xd8, v5
	v_sub_u16_e32 v5, v12, v5
	v_mul_u32_u24_e32 v37, 3, v5
	v_lshlrev_b32_e32 v37, 2, v37
	global_load_dwordx3 v[45:47], v37, s[12:13] offset:840
	v_lshl_add_u32 v5, v5, 1, 0
	s_waitcnt vmcnt(0) lgkmcnt(10)
	v_mul_f16_sdwa v37, v60, v45 dst_sel:DWORD dst_unused:UNUSED_PAD src0_sel:DWORD src1_sel:WORD_1
	v_fma_f16 v82, v64, v45, v37
	v_mul_f16_sdwa v37, v64, v45 dst_sel:DWORD dst_unused:UNUSED_PAD src0_sel:DWORD src1_sel:WORD_1
	v_fma_f16 v60, v60, v45, -v37
	s_waitcnt lgkmcnt(9)
	v_mul_f16_sdwa v37, v62, v46 dst_sel:DWORD dst_unused:UNUSED_PAD src0_sel:DWORD src1_sel:WORD_1
	v_fma_f16 v64, v66, v46, v37
	v_mul_f16_sdwa v37, v66, v46 dst_sel:DWORD dst_unused:UNUSED_PAD src0_sel:DWORD src1_sel:WORD_1
	v_fma_f16 v62, v62, v46, -v37
	s_waitcnt lgkmcnt(8)
	v_mul_f16_sdwa v37, v65, v47 dst_sel:DWORD dst_unused:UNUSED_PAD src0_sel:DWORD src1_sel:WORD_1
	v_fma_f16 v66, v68, v47, v37
	v_mul_f16_sdwa v37, v68, v47 dst_sel:DWORD dst_unused:UNUSED_PAD src0_sel:DWORD src1_sel:WORD_1
	v_fma_f16 v65, v65, v47, -v37
	v_lshrrev_b16_e32 v37, 3, v9
	v_mul_u32_u24_e32 v37, 0x12f7, v37
	v_lshrrev_b32_e32 v37, 17, v37
	v_mul_lo_u16_e32 v38, 0xd8, v37
	v_sub_u16_e32 v38, v9, v38
	v_mul_u32_u24_e32 v45, 3, v38
	v_lshlrev_b32_e32 v45, 2, v45
	global_load_dwordx3 v[45:47], v45, s[12:13] offset:840
	s_waitcnt vmcnt(0) lgkmcnt(6)
	v_mul_f16_sdwa v50, v67, v45 dst_sel:DWORD dst_unused:UNUSED_PAD src0_sel:DWORD src1_sel:WORD_1
	v_fma_f16 v68, v39, v45, v50
	v_mul_f16_sdwa v39, v39, v45 dst_sel:DWORD dst_unused:UNUSED_PAD src0_sel:DWORD src1_sel:WORD_1
	v_fma_f16 v67, v67, v45, -v39
	s_waitcnt lgkmcnt(5)
	v_mul_f16_sdwa v39, v69, v46 dst_sel:DWORD dst_unused:UNUSED_PAD src0_sel:DWORD src1_sel:WORD_1
	v_fma_f16 v83, v42, v46, v39
	v_mul_f16_sdwa v39, v42, v46 dst_sel:DWORD dst_unused:UNUSED_PAD src0_sel:DWORD src1_sel:WORD_1
	v_fma_f16 v42, v69, v46, -v39
	s_waitcnt lgkmcnt(4)
	v_mul_f16_sdwa v39, v70, v47 dst_sel:DWORD dst_unused:UNUSED_PAD src0_sel:DWORD src1_sel:WORD_1
	v_fma_f16 v69, v41, v47, v39
	v_mul_f16_sdwa v39, v41, v47 dst_sel:DWORD dst_unused:UNUSED_PAD src0_sel:DWORD src1_sel:WORD_1
	v_fma_f16 v70, v70, v47, -v39
	v_lshrrev_b16_e32 v39, 3, v11
	v_mul_u32_u24_e32 v39, 0x12f7, v39
	v_lshrrev_b32_e32 v39, 17, v39
	v_mul_lo_u16_e32 v39, 0xd8, v39
	v_sub_u16_e32 v41, v11, v39
	v_mul_u32_u24_e32 v39, 3, v41
	v_lshlrev_b32_e32 v39, 2, v39
	global_load_dwordx3 v[45:47], v39, s[12:13] offset:840
	s_waitcnt vmcnt(0) lgkmcnt(0)
	s_barrier
	v_mul_f16_sdwa v39, v71, v45 dst_sel:DWORD dst_unused:UNUSED_PAD src0_sel:DWORD src1_sel:WORD_1
	v_fma_f16 v84, v31, v45, v39
	v_mul_f16_sdwa v31, v31, v45 dst_sel:DWORD dst_unused:UNUSED_PAD src0_sel:DWORD src1_sel:WORD_1
	v_mul_f16_sdwa v39, v44, v46 dst_sel:DWORD dst_unused:UNUSED_PAD src0_sel:DWORD src1_sel:WORD_1
	v_fma_f16 v31, v71, v45, -v31
	v_fma_f16 v71, v30, v46, v39
	v_mul_f16_sdwa v30, v30, v46 dst_sel:DWORD dst_unused:UNUSED_PAD src0_sel:DWORD src1_sel:WORD_1
	v_fma_f16 v85, v44, v46, -v30
	v_mul_f16_sdwa v30, v43, v47 dst_sel:DWORD dst_unused:UNUSED_PAD src0_sel:DWORD src1_sel:WORD_1
	v_fma_f16 v86, v29, v47, v30
	v_mul_f16_sdwa v29, v29, v47 dst_sel:DWORD dst_unused:UNUSED_PAD src0_sel:DWORD src1_sel:WORD_1
	v_sub_f16_e32 v39, v40, v48
	v_sub_f16_e32 v44, v73, v54
	v_fma_f16 v29, v43, v47, -v29
	v_sub_f16_e32 v30, v27, v74
	v_fma_f16 v40, v40, 2.0, -v39
	v_sub_f16_e32 v43, v72, v75
	v_fma_f16 v46, v73, 2.0, -v44
	v_sub_f16_e32 v50, v40, v46
	v_add_f16_e32 v73, v30, v44
	v_sub_f16_e32 v53, v39, v43
	v_fma_f16 v27, v27, 2.0, -v30
	v_fma_f16 v45, v72, 2.0, -v43
	;; [unrolled: 1-line block ×5, first 2 shown]
	v_sub_f16_e32 v30, v25, v56
	v_sub_f16_e32 v39, v36, v77
	;; [unrolled: 1-line block ×5, first 2 shown]
	v_fma_f16 v25, v25, 2.0, -v30
	v_fma_f16 v36, v36, 2.0, -v39
	;; [unrolled: 1-line block ×4, first 2 shown]
	v_add_f16_e32 v76, v30, v43
	v_sub_f16_e32 v54, v39, v40
	v_sub_f16_e32 v75, v25, v44
	;; [unrolled: 1-line block ×3, first 2 shown]
	v_fma_f16 v77, v30, 2.0, -v76
	v_fma_f16 v56, v39, 2.0, -v54
	v_sub_f16_e32 v30, v26, v80
	v_sub_f16_e32 v43, v35, v61
	;; [unrolled: 1-line block ×4, first 2 shown]
	v_fma_f16 v58, v36, 2.0, -v52
	v_fma_f16 v26, v26, 2.0, -v30
	;; [unrolled: 1-line block ×5, first 2 shown]
	v_sub_f16_e32 v59, v26, v36
	v_sub_f16_e32 v36, v35, v40
	v_fma_f16 v40, v35, 2.0, -v36
	v_add_f16_e32 v61, v30, v44
	v_sub_f16_e32 v35, v23, v64
	v_sub_f16_e32 v44, v34, v62
	;; [unrolled: 1-line block ×4, first 2 shown]
	v_fma_f16 v63, v30, 2.0, -v61
	v_fma_f16 v23, v23, 2.0, -v35
	;; [unrolled: 1-line block ×5, first 2 shown]
	v_sub_f16_e32 v60, v23, v30
	v_sub_f16_e32 v30, v34, v45
	v_fma_f16 v45, v34, 2.0, -v30
	v_add_f16_e32 v62, v35, v47
	v_sub_f16_e32 v34, v44, v46
	v_sub_f16_e32 v46, v22, v83
	;; [unrolled: 1-line block ×5, first 2 shown]
	v_fma_f16 v64, v35, 2.0, -v62
	v_fma_f16 v35, v44, 2.0, -v34
	;; [unrolled: 1-line block ×7, first 2 shown]
	v_sub_f16_e32 v65, v22, v33
	v_sub_f16_e32 v33, v42, v44
	v_fma_f16 v44, v42, 2.0, -v33
	v_add_f16_e32 v66, v46, v49
	v_sub_f16_e32 v42, v47, v48
	v_sub_f16_e32 v51, v24, v71
	;; [unrolled: 1-line block ×5, first 2 shown]
	ds_write_b16 v14, v27
	ds_write_b16 v14, v74 offset:432
	ds_write_b16 v14, v72 offset:864
	;; [unrolled: 1-line block ×3, first 2 shown]
	v_mov_b32_e32 v27, 0x6c0
	v_fma_f16 v67, v46, 2.0, -v66
	v_fma_f16 v46, v47, 2.0, -v42
	;; [unrolled: 1-line block ×6, first 2 shown]
	v_add_f16_e32 v29, v51, v29
	v_sub_f16_e32 v48, v68, v48
	v_cndmask_b32_e64 v27, 0, v27, s[0:1]
	v_fma_f16 v25, v25, 2.0, -v75
	v_fma_f16 v26, v26, 2.0, -v59
	;; [unrolled: 1-line block ×3, first 2 shown]
	v_sub_f16_e32 v69, v24, v47
	v_sub_f16_e32 v47, v32, v31
	v_fma_f16 v31, v51, 2.0, -v29
	v_fma_f16 v51, v68, 2.0, -v48
	v_add3_u32 v68, 0, v27, v28
	v_lshl_add_u32 v70, v7, 1, 0
	ds_write_b16 v68, v25
	ds_write_b16 v68, v77 offset:432
	ds_write_b16 v68, v75 offset:864
	;; [unrolled: 1-line block ×11, first 2 shown]
	v_mul_u32_u24_e32 v23, 0x6c0, v37
	v_lshlrev_b32_e32 v25, 1, v38
	v_fma_f16 v22, v22, 2.0, -v65
	v_add3_u32 v71, 0, v23, v25
	v_fma_f16 v24, v24, 2.0, -v69
	ds_write_b16 v71, v22
	ds_write_b16 v71, v67 offset:432
	ds_write_b16 v71, v65 offset:864
	;; [unrolled: 1-line block ×3, first 2 shown]
	v_lshl_add_u32 v67, v41, 1, 0
	v_fma_f16 v49, v32, 2.0, -v47
	ds_write_b16 v67, v24 offset:5184
	ds_write_b16 v67, v31 offset:5616
	;; [unrolled: 1-line block ×4, first 2 shown]
	s_waitcnt lgkmcnt(0)
	s_barrier
	ds_read_u16 v22, v14
	ds_read_u16 v23, v14 offset:1728
	ds_read_u16 v25, v14 offset:3456
	ds_read_u16 v24, v14 offset:5184
	ds_read_u16 v18, v18
	ds_read_u16 v26, v14 offset:2016
	ds_read_u16 v27, v14 offset:3744
	ds_read_u16 v28, v14 offset:5472
	;; [unrolled: 4-line block ×6, first 2 shown]
	v_sub_f16_e32 v39, v43, v39
	v_fma_f16 v43, v43, 2.0, -v39
	s_waitcnt lgkmcnt(0)
	s_barrier
	ds_write_b16 v14, v57
	ds_write_b16 v14, v55 offset:432
	ds_write_b16 v14, v50 offset:864
	;; [unrolled: 1-line block ×3, first 2 shown]
	ds_write_b16 v68, v58
	ds_write_b16 v68, v56 offset:432
	ds_write_b16 v68, v52 offset:864
	;; [unrolled: 1-line block ×11, first 2 shown]
	ds_write_b16 v71, v44
	ds_write_b16 v71, v46 offset:432
	ds_write_b16 v71, v33 offset:864
	;; [unrolled: 1-line block ×7, first 2 shown]
	s_waitcnt lgkmcnt(0)
	s_barrier
	s_and_saveexec_b64 s[0:1], vcc
	s_cbranch_execz .LBB0_15
; %bb.14:
	v_mul_i32_i24_e32 v5, 3, v11
	v_lshlrev_b64 v[33:34], 2, v[5:6]
	v_mov_b32_e32 v30, s13
	v_add_co_u32_e32 v33, vcc, s12, v33
	v_mul_i32_i24_e32 v5, 3, v9
	v_addc_co_u32_e32 v34, vcc, v30, v34, vcc
	v_lshlrev_b64 v[39:40], 2, v[5:6]
	global_load_dwordx3 v[33:35], v[33:34], off offset:3432
	v_add_co_u32_e32 v39, vcc, s12, v39
	v_addc_co_u32_e32 v40, vcc, v30, v40, vcc
	global_load_dwordx3 v[42:44], v[39:40], off offset:3432
	v_mul_i32_i24_e32 v5, 3, v12
	v_mul_lo_u32 v9, s5, v3
	v_mul_lo_u32 v11, s4, v4
	v_mad_u64_u32 v[39:40], s[0:1], s4, v3, 0
	v_lshlrev_b64 v[3:4], 2, v[5:6]
	v_mul_i32_i24_e32 v5, 3, v10
	v_add_co_u32_e32 v3, vcc, s12, v3
	v_addc_co_u32_e32 v4, vcc, v30, v4, vcc
	v_mul_i32_i24_e32 v54, -10, v10
	ds_read_u16 v20, v20
	ds_read_u16 v56, v16
	ds_read_u16 v57, v14 offset:5760
	ds_read_u16 v58, v14 offset:5472
	ds_read_u16 v67, v14 offset:5184
	ds_read_u16 v16, v14 offset:4896
	ds_read_u16 v68, v14 offset:4608
	ds_read_u16 v69, v14 offset:4320
	ds_read_u16 v70, v14 offset:3456
	ds_read_u16 v71, v14 offset:3168
	ds_read_u16 v72, v14 offset:2880
	ds_read_u16 v73, v14 offset:2592
	global_load_dwordx3 v[45:47], v[3:4], off offset:3432
	v_add3_u32 v40, v40, v11, v9
	v_lshlrev_b64 v[9:10], 2, v[5:6]
	ds_read_u16 v5, v14 offset:6624
	v_add_co_u32_e32 v3, vcc, s12, v21
	v_mul_i32_i24_e32 v55, -10, v12
	v_addc_co_u32_e32 v4, vcc, 0, v30, vcc
	global_load_dwordx3 v[48:50], v[3:4], off offset:3432
	v_add_co_u32_e32 v3, vcc, s12, v9
	v_add_u32_e32 v15, v15, v55
	ds_read_u16 v15, v15
	v_addc_co_u32_e32 v4, vcc, v30, v10, vcc
	ds_read_u16 v74, v14 offset:6336
	global_load_dwordx3 v[51:53], v[3:4], off offset:3432
	v_mul_i32_i24_e32 v36, -10, v8
	v_add_u32_e32 v13, v13, v54
	ds_read_u16 v13, v13
	v_add_u32_e32 v0, v0, v36
	s_mov_b32 s0, 0x97b425f
	s_movk_i32 s1, 0xd80
	s_waitcnt vmcnt(4)
	v_mul_f16_sdwa v4, v64, v33 dst_sel:DWORD dst_unused:UNUSED_PAD src0_sel:DWORD src1_sel:WORD_1
	v_mul_f16_sdwa v9, v65, v35 dst_sel:DWORD dst_unused:UNUSED_PAD src0_sel:DWORD src1_sel:WORD_1
	;; [unrolled: 1-line block ×3, first 2 shown]
	s_waitcnt lgkmcnt(6)
	v_mul_f16_sdwa v11, v71, v33 dst_sel:DWORD dst_unused:UNUSED_PAD src0_sel:DWORD src1_sel:WORD_1
	s_waitcnt lgkmcnt(3)
	v_mul_f16_sdwa v12, v5, v35 dst_sel:DWORD dst_unused:UNUSED_PAD src0_sel:DWORD src1_sel:WORD_1
	v_fma_f16 v21, v33, v71, -v4
	v_fma_f16 v4, v35, v5, -v9
	;; [unrolled: 1-line block ×3, first 2 shown]
	v_fma_f16 v9, v64, v33, v11
	v_fma_f16 v10, v65, v35, v12
	v_mul_f16_sdwa v3, v34, v16 dst_sel:DWORD dst_unused:UNUSED_PAD src0_sel:WORD_1 src1_sel:DWORD
	v_sub_f16_e32 v5, v20, v5
	v_sub_f16_e32 v10, v9, v10
	v_fma_f16 v3, v66, v34, v3
	s_waitcnt vmcnt(3)
	v_mul_f16_sdwa v12, v61, v42 dst_sel:DWORD dst_unused:UNUSED_PAD src0_sel:DWORD src1_sel:WORD_1
	v_mul_f16_sdwa v33, v62, v44 dst_sel:DWORD dst_unused:UNUSED_PAD src0_sel:DWORD src1_sel:WORD_1
	v_sub_f16_e32 v34, v21, v4
	v_sub_f16_e32 v4, v5, v10
	v_fma_f16 v64, v42, v72, -v12
	v_fma_f16 v20, v20, 2.0, -v5
	v_fma_f16 v12, v5, 2.0, -v4
	s_waitcnt lgkmcnt(1)
	v_fma_f16 v5, v44, v74, -v33
	v_sub_f16_e32 v71, v64, v5
	v_mul_f16_sdwa v5, v63, v43 dst_sel:DWORD dst_unused:UNUSED_PAD src0_sel:DWORD src1_sel:WORD_1
	v_mul_f16_sdwa v11, v43, v68 dst_sel:DWORD dst_unused:UNUSED_PAD src0_sel:WORD_1 src1_sel:DWORD
	v_fma_f16 v5, v43, v68, -v5
	v_fma_f16 v11, v63, v43, v11
	v_sub_f16_e32 v43, v56, v5
	v_mul_i32_i24_e32 v5, 3, v8
	v_lshlrev_b64 v[5:6], 2, v[5:6]
	v_sub_f16_e32 v16, v17, v3
	v_add_co_u32_e32 v5, vcc, s12, v5
	v_addc_co_u32_e32 v6, vcc, v30, v6, vcc
	v_add_f16_e32 v3, v16, v34
	v_fma_f16 v9, v9, 2.0, -v10
	v_fma_f16 v10, v21, 2.0, -v34
	global_load_dwordx3 v[33:35], v[5:6], off offset:3432
	v_mul_f16_sdwa v5, v72, v42 dst_sel:DWORD dst_unused:UNUSED_PAD src0_sel:DWORD src1_sel:WORD_1
	v_fma_f16 v6, v61, v42, v5
	v_mul_f16_sdwa v5, v74, v44 dst_sel:DWORD dst_unused:UNUSED_PAD src0_sel:DWORD src1_sel:WORD_1
	ds_read_u16 v66, v14 offset:6048
	v_fma_f16 v5, v62, v44, v5
	ds_read_u16 v44, v14 offset:4032
	v_sub_f16_e32 v8, v6, v5
	v_sub_f16_e32 v5, v43, v8
	v_fma_f16 v6, v6, 2.0, -v8
	v_fma_f16 v8, v56, 2.0, -v43
	s_waitcnt vmcnt(3)
	v_mul_f16_sdwa v56, v46, v69 dst_sel:DWORD dst_unused:UNUSED_PAD src0_sel:WORD_1 src1_sel:DWORD
	v_sub_f16_e32 v65, v60, v11
	v_fma_f16 v56, v59, v46, v56
	v_mul_f16_sdwa v59, v59, v46 dst_sel:DWORD dst_unused:UNUSED_PAD src0_sel:DWORD src1_sel:WORD_1
	v_fma_f16 v42, v60, 2.0, -v65
	v_mul_f16_sdwa v60, v38, v45 dst_sel:DWORD dst_unused:UNUSED_PAD src0_sel:DWORD src1_sel:WORD_1
	v_fma_f16 v46, v46, v69, -v59
	v_mul_f16_sdwa v59, v73, v45 dst_sel:DWORD dst_unused:UNUSED_PAD src0_sel:DWORD src1_sel:WORD_1
	v_fma_f16 v60, v45, v73, -v60
	v_mul_f16_sdwa v62, v41, v47 dst_sel:DWORD dst_unused:UNUSED_PAD src0_sel:DWORD src1_sel:WORD_1
	v_fma_f16 v38, v38, v45, v59
	s_waitcnt lgkmcnt(1)
	v_mul_f16_sdwa v45, v66, v47 dst_sel:DWORD dst_unused:UNUSED_PAD src0_sel:DWORD src1_sel:WORD_1
	v_fma_f16 v62, v47, v66, -v62
	v_fma_f16 v41, v41, v47, v45
	ds_read_u16 v61, v14 offset:2304
	v_sub_f16_e32 v62, v60, v62
	v_sub_f16_e32 v46, v15, v46
	;; [unrolled: 1-line block ×5, first 2 shown]
	v_fma_f16 v38, v38, 2.0, -v41
	v_fma_f16 v15, v15, 2.0, -v46
	;; [unrolled: 1-line block ×3, first 2 shown]
	v_add_f16_e32 v55, v56, v62
	v_sub_f16_e32 v41, v15, v41
	v_fma_f16 v63, v56, 2.0, -v55
	v_fma_f16 v47, v46, 2.0, -v45
	;; [unrolled: 1-line block ×4, first 2 shown]
	ds_read_u16 v15, v14 offset:3744
	s_waitcnt vmcnt(1) lgkmcnt(2)
	v_mul_f16_sdwa v56, v52, v44 dst_sel:DWORD dst_unused:UNUSED_PAD src0_sel:WORD_1 src1_sel:DWORD
	v_fma_f16 v56, v31, v52, v56
	v_mul_f16_sdwa v31, v31, v52 dst_sel:DWORD dst_unused:UNUSED_PAD src0_sel:DWORD src1_sel:WORD_1
	ds_read_u16 v60, v14 offset:2016
	v_fma_f16 v31, v52, v44, -v31
	s_waitcnt lgkmcnt(2)
	v_mul_f16_sdwa v44, v61, v51 dst_sel:DWORD dst_unused:UNUSED_PAD src0_sel:DWORD src1_sel:WORD_1
	v_mul_f16_sdwa v59, v29, v51 dst_sel:DWORD dst_unused:UNUSED_PAD src0_sel:DWORD src1_sel:WORD_1
	v_fma_f16 v29, v29, v51, v44
	v_mul_f16_sdwa v44, v57, v53 dst_sel:DWORD dst_unused:UNUSED_PAD src0_sel:DWORD src1_sel:WORD_1
	v_mul_f16_sdwa v62, v32, v53 dst_sel:DWORD dst_unused:UNUSED_PAD src0_sel:DWORD src1_sel:WORD_1
	v_fma_f16 v32, v32, v53, v44
	v_fma_f16 v59, v51, v61, -v59
	v_fma_f16 v62, v53, v57, -v62
	ds_read_u16 v53, v14 offset:1728
	v_sub_f16_e32 v32, v29, v32
	ds_read_u16 v0, v0
	v_sub_f16_e32 v31, v13, v31
	v_sub_f16_e32 v62, v59, v62
	;; [unrolled: 1-line block ×3, first 2 shown]
	v_fma_f16 v51, v31, 2.0, -v44
	v_fma_f16 v13, v13, 2.0, -v31
	v_fma_f16 v31, v59, 2.0, -v62
	v_sub_f16_e32 v56, v19, v56
	v_sub_f16_e32 v31, v13, v31
	v_fma_f16 v19, v19, 2.0, -v56
	v_fma_f16 v29, v29, 2.0, -v32
	;; [unrolled: 1-line block ×3, first 2 shown]
	v_add_f16_e32 v54, v56, v62
	v_sub_f16_e32 v29, v19, v29
	v_fma_f16 v30, v43, 2.0, -v5
	v_fma_f16 v43, v64, 2.0, -v71
	;; [unrolled: 1-line block ×4, first 2 shown]
	v_sub_f16_e32 v38, v37, v38
	v_fma_f16 v37, v37, 2.0, -v38
	v_sub_f16_e32 v6, v42, v6
	v_sub_f16_e32 v43, v8, v43
	v_fma_f16 v42, v42, 2.0, -v6
	v_fma_f16 v8, v8, 2.0, -v43
	s_waitcnt vmcnt(0) lgkmcnt(3)
	v_mul_f16_sdwa v13, v34, v15 dst_sel:DWORD dst_unused:UNUSED_PAD src0_sel:WORD_1 src1_sel:DWORD
	v_fma_f16 v13, v27, v34, v13
	v_mul_f16_sdwa v27, v27, v34 dst_sel:DWORD dst_unused:UNUSED_PAD src0_sel:DWORD src1_sel:WORD_1
	v_mul_f16_sdwa v19, v26, v33 dst_sel:DWORD dst_unused:UNUSED_PAD src0_sel:DWORD src1_sel:WORD_1
	;; [unrolled: 1-line block ×3, first 2 shown]
	v_fma_f16 v15, v34, v15, -v27
	s_waitcnt lgkmcnt(2)
	v_mul_f16_sdwa v27, v60, v33 dst_sel:DWORD dst_unused:UNUSED_PAD src0_sel:DWORD src1_sel:WORD_1
	v_fma_f16 v19, v33, v60, -v19
	v_fma_f16 v56, v35, v58, -v56
	v_fma_f16 v26, v26, v33, v27
	v_mul_f16_sdwa v27, v58, v35 dst_sel:DWORD dst_unused:UNUSED_PAD src0_sel:DWORD src1_sel:WORD_1
	v_sub_f16_e32 v13, v18, v13
	v_sub_f16_e32 v56, v19, v56
	v_fma_f16 v27, v28, v35, v27
	v_add_f16_e32 v36, v13, v56
	s_waitcnt lgkmcnt(0)
	v_sub_f16_e32 v15, v0, v15
	v_sub_f16_e32 v27, v26, v27
	v_fma_f16 v57, v13, 2.0, -v36
	v_sub_f16_e32 v28, v15, v27
	v_fma_f16 v13, v18, 2.0, -v13
	v_fma_f16 v18, v26, 2.0, -v27
	;; [unrolled: 1-line block ×3, first 2 shown]
	v_sub_f16_e32 v26, v13, v18
	v_fma_f16 v0, v0, 2.0, -v15
	v_fma_f16 v15, v19, 2.0, -v56
	v_sub_f16_e32 v27, v0, v15
	v_fma_f16 v34, v13, 2.0, -v26
	v_mul_f16_sdwa v13, v23, v48 dst_sel:DWORD dst_unused:UNUSED_PAD src0_sel:DWORD src1_sel:WORD_1
	ds_read_u16 v15, v14
	v_fma_f16 v18, v48, v53, -v13
	v_mul_f16_sdwa v13, v24, v50 dst_sel:DWORD dst_unused:UNUSED_PAD src0_sel:DWORD src1_sel:WORD_1
	v_fma_f16 v13, v50, v67, -v13
	v_mul_f16_sdwa v14, v67, v50 dst_sel:DWORD dst_unused:UNUSED_PAD src0_sel:DWORD src1_sel:WORD_1
	v_sub_f16_e32 v19, v18, v13
	v_mul_f16_sdwa v13, v25, v49 dst_sel:DWORD dst_unused:UNUSED_PAD src0_sel:DWORD src1_sel:WORD_1
	v_fma_f16 v14, v24, v50, v14
	v_lshrrev_b32_e32 v24, 5, v7
	v_fma_f16 v35, v0, 2.0, -v27
	v_mul_f16_sdwa v0, v49, v70 dst_sel:DWORD dst_unused:UNUSED_PAD src0_sel:WORD_1 src1_sel:DWORD
	v_fma_f16 v13, v49, v70, -v13
	v_mul_hi_u32 v24, v24, s0
	v_fma_f16 v0, v25, v49, v0
	s_waitcnt lgkmcnt(0)
	v_sub_f16_e32 v25, v15, v13
	v_mul_f16_sdwa v13, v53, v48 dst_sel:DWORD dst_unused:UNUSED_PAD src0_sel:DWORD src1_sel:WORD_1
	v_sub_f16_e32 v0, v22, v0
	v_fma_f16 v13, v23, v48, v13
	v_add_f16_e32 v56, v0, v19
	v_sub_f16_e32 v14, v13, v14
	v_fma_f16 v58, v0, 2.0, -v56
	v_fma_f16 v22, v22, 2.0, -v0
	;; [unrolled: 1-line block ×3, first 2 shown]
	v_mul_u32_u24_e32 v13, 0x360, v24
	v_sub_u32_e32 v24, v7, v13
	v_sub_f16_e32 v23, v25, v14
	v_mad_u64_u32 v[13:14], s[4:5], s2, v24, 0
	v_fma_f16 v48, v25, 2.0, -v23
	v_fma_f16 v25, v15, 2.0, -v25
	;; [unrolled: 1-line block ×3, first 2 shown]
	v_sub_f16_e32 v50, v25, v18
	v_lshlrev_b64 v[18:19], 2, v[39:40]
	v_sub_f16_e32 v49, v22, v0
	v_mov_b32_e32 v0, v14
	v_mad_u64_u32 v[14:15], s[4:5], s3, v24, v[0:1]
	v_mov_b32_e32 v0, s11
	v_add_co_u32_e32 v18, vcc, s10, v18
	v_addc_co_u32_e32 v19, vcc, v0, v19, vcc
	v_lshlrev_b64 v[0:1], 2, v[1:2]
	v_fma_f16 v15, v22, 2.0, -v49
	v_fma_f16 v22, v25, 2.0, -v50
	v_add_co_u32_e32 v25, vcc, v18, v0
	v_add_u32_e32 v18, 0x360, v24
	v_addc_co_u32_e32 v39, vcc, v19, v1, vcc
	v_lshlrev_b64 v[0:1], 2, v[13:14]
	v_mad_u64_u32 v[13:14], s[4:5], s2, v18, 0
	v_pack_b32_f16 v22, v15, v22
	v_add_co_u32_e32 v0, vcc, v25, v0
	v_mov_b32_e32 v2, v14
	v_mad_u64_u32 v[14:15], s[4:5], s3, v18, v[2:3]
	v_add_u32_e32 v15, 0x6c0, v24
	v_mad_u64_u32 v[18:19], s[4:5], s2, v15, 0
	v_addc_co_u32_e32 v1, vcc, v39, v1, vcc
	v_mov_b32_e32 v2, v19
	global_store_dword v[0:1], v22, off
	v_lshlrev_b64 v[0:1], 2, v[13:14]
	v_mad_u64_u32 v[13:14], s[4:5], s3, v15, v[2:3]
	v_add_co_u32_e32 v0, vcc, v25, v0
	v_addc_co_u32_e32 v1, vcc, v39, v1, vcc
	v_pack_b32_f16 v2, v58, v48
	v_mov_b32_e32 v19, v13
	global_store_dword v[0:1], v2, off
	v_lshlrev_b64 v[0:1], 2, v[18:19]
	v_add_u32_e32 v15, 0xa20, v24
	v_add_u32_e32 v18, 0x90, v7
	v_mad_u64_u32 v[13:14], s[4:5], s2, v15, 0
	v_lshrrev_b32_e32 v2, 5, v18
	v_mul_hi_u32 v19, v2, s0
	v_mov_b32_e32 v2, v14
	v_mad_u64_u32 v[14:15], s[4:5], s3, v15, v[2:3]
	v_mul_u32_u24_e32 v2, 0x360, v19
	v_sub_u32_e32 v2, v18, v2
	v_mad_u32_u24 v24, v19, s1, v2
	v_mad_u64_u32 v[18:19], s[4:5], s2, v24, 0
	v_add_co_u32_e32 v0, vcc, v25, v0
	v_addc_co_u32_e32 v1, vcc, v39, v1, vcc
	v_pack_b32_f16 v22, v49, v50
	v_mov_b32_e32 v2, v19
	global_store_dword v[0:1], v22, off
	v_lshlrev_b64 v[0:1], 2, v[13:14]
	v_mad_u64_u32 v[13:14], s[4:5], s3, v24, v[2:3]
	v_add_u32_e32 v15, 0x360, v24
	v_add_co_u32_e32 v0, vcc, v25, v0
	v_mov_b32_e32 v19, v13
	v_mad_u64_u32 v[13:14], s[4:5], s2, v15, 0
	v_addc_co_u32_e32 v1, vcc, v39, v1, vcc
	v_pack_b32_f16 v2, v56, v23
	global_store_dword v[0:1], v2, off
	v_mov_b32_e32 v2, v14
	v_mad_u64_u32 v[14:15], s[4:5], s3, v15, v[2:3]
	v_add_u32_e32 v15, 0x6c0, v24
	v_lshlrev_b64 v[0:1], 2, v[18:19]
	v_mad_u64_u32 v[18:19], s[4:5], s2, v15, 0
	v_add_co_u32_e32 v0, vcc, v25, v0
	v_addc_co_u32_e32 v1, vcc, v39, v1, vcc
	v_pack_b32_f16 v22, v34, v35
	v_mov_b32_e32 v2, v19
	global_store_dword v[0:1], v22, off
	v_lshlrev_b64 v[0:1], 2, v[13:14]
	v_mad_u64_u32 v[13:14], s[4:5], s3, v15, v[2:3]
	v_add_co_u32_e32 v0, vcc, v25, v0
	v_addc_co_u32_e32 v1, vcc, v39, v1, vcc
	v_pack_b32_f16 v2, v57, v33
	v_mov_b32_e32 v19, v13
	global_store_dword v[0:1], v2, off
	v_lshlrev_b64 v[0:1], 2, v[18:19]
	v_add_u32_e32 v15, 0xa20, v24
	v_add_u32_e32 v18, 0x120, v7
	v_mad_u64_u32 v[13:14], s[4:5], s2, v15, 0
	v_lshrrev_b32_e32 v2, 5, v18
	v_mul_hi_u32 v19, v2, s0
	v_mov_b32_e32 v2, v14
	v_mad_u64_u32 v[14:15], s[4:5], s3, v15, v[2:3]
	v_mul_u32_u24_e32 v2, 0x360, v19
	v_sub_u32_e32 v2, v18, v2
	v_mad_u32_u24 v23, v19, s1, v2
	v_mad_u64_u32 v[18:19], s[4:5], s2, v23, 0
	v_add_co_u32_e32 v0, vcc, v25, v0
	v_addc_co_u32_e32 v1, vcc, v39, v1, vcc
	v_pack_b32_f16 v22, v26, v27
	v_mov_b32_e32 v2, v19
	global_store_dword v[0:1], v22, off
	v_lshlrev_b64 v[0:1], 2, v[13:14]
	v_mad_u64_u32 v[13:14], s[4:5], s3, v23, v[2:3]
	v_add_u32_e32 v15, 0x360, v23
	v_add_co_u32_e32 v0, vcc, v25, v0
	v_mov_b32_e32 v19, v13
	v_mad_u64_u32 v[13:14], s[4:5], s2, v15, 0
	v_addc_co_u32_e32 v1, vcc, v39, v1, vcc
	v_pack_b32_f16 v2, v36, v28
	global_store_dword v[0:1], v2, off
	v_mov_b32_e32 v2, v14
	v_mad_u64_u32 v[14:15], s[4:5], s3, v15, v[2:3]
	v_add_u32_e32 v15, 0x6c0, v23
	v_lshlrev_b64 v[0:1], 2, v[18:19]
	v_mad_u64_u32 v[18:19], s[4:5], s2, v15, 0
	v_add_co_u32_e32 v0, vcc, v25, v0
	v_addc_co_u32_e32 v1, vcc, v39, v1, vcc
	v_pack_b32_f16 v22, v32, v52
	;; [unrolled: 43-line block ×4, first 2 shown]
	v_mov_b32_e32 v2, v19
	global_store_dword v[0:1], v8, off
	v_lshlrev_b64 v[0:1], 2, v[13:14]
	v_mad_u64_u32 v[13:14], s[4:5], s3, v15, v[2:3]
	v_fma_f16 v17, v17, 2.0, -v16
	v_add_u32_e32 v8, 0xa20, v23
	v_sub_f16_e32 v9, v17, v9
	v_sub_f16_e32 v10, v20, v10
	v_mov_b32_e32 v19, v13
	v_mad_u64_u32 v[13:14], s[4:5], s2, v8, 0
	v_fma_f16 v11, v16, 2.0, -v3
	v_fma_f16 v16, v17, 2.0, -v9
	;; [unrolled: 1-line block ×3, first 2 shown]
	v_add_f16_e32 v20, v65, v71
	v_fma_f16 v21, v65, 2.0, -v20
	v_add_co_u32_e32 v0, vcc, v25, v0
	v_addc_co_u32_e32 v1, vcc, v39, v1, vcc
	v_pack_b32_f16 v2, v21, v30
	global_store_dword v[0:1], v2, off
	v_mov_b32_e32 v2, v14
	v_mad_u64_u32 v[14:15], s[4:5], s3, v8, v[2:3]
	v_add_u32_e32 v2, 0x2d0, v7
	v_lshrrev_b32_e32 v7, 5, v2
	v_lshlrev_b64 v[0:1], 2, v[18:19]
	v_mul_hi_u32 v7, v7, s0
	v_add_co_u32_e32 v0, vcc, v25, v0
	v_addc_co_u32_e32 v1, vcc, v39, v1, vcc
	v_pack_b32_f16 v6, v6, v43
	global_store_dword v[0:1], v6, off
	v_mul_u32_u24_e32 v6, 0x360, v7
	v_sub_u32_e32 v2, v2, v6
	v_mad_u32_u24 v15, v7, s1, v2
	v_mad_u64_u32 v[6:7], s[0:1], s2, v15, 0
	v_lshlrev_b64 v[0:1], 2, v[13:14]
	v_pack_b32_f16 v5, v20, v5
	v_mov_b32_e32 v2, v7
	v_mad_u64_u32 v[7:8], s[0:1], s3, v15, v[2:3]
	v_add_u32_e32 v8, 0x360, v15
	v_mad_u64_u32 v[13:14], s[0:1], s2, v8, 0
	v_add_co_u32_e32 v0, vcc, v25, v0
	v_addc_co_u32_e32 v1, vcc, v39, v1, vcc
	v_mov_b32_e32 v2, v14
	global_store_dword v[0:1], v5, off
	v_lshlrev_b64 v[0:1], 2, v[6:7]
	v_mad_u64_u32 v[5:6], s[0:1], s3, v8, v[2:3]
	v_add_u32_e32 v7, 0x6c0, v15
	v_add_co_u32_e32 v0, vcc, v25, v0
	v_mov_b32_e32 v14, v5
	v_mad_u64_u32 v[5:6], s[0:1], s2, v7, 0
	v_addc_co_u32_e32 v1, vcc, v39, v1, vcc
	v_pack_b32_f16 v2, v16, v17
	global_store_dword v[0:1], v2, off
	v_mov_b32_e32 v2, v6
	v_pack_b32_f16 v11, v11, v12
	v_mad_u64_u32 v[6:7], s[0:1], s3, v7, v[2:3]
	v_add_u32_e32 v12, 0xa20, v15
	v_mad_u64_u32 v[7:8], s[0:1], s2, v12, 0
	v_lshlrev_b64 v[0:1], 2, v[13:14]
	v_add_co_u32_e32 v0, vcc, v25, v0
	v_addc_co_u32_e32 v1, vcc, v39, v1, vcc
	v_mov_b32_e32 v2, v8
	global_store_dword v[0:1], v11, off
	v_lshlrev_b64 v[0:1], 2, v[5:6]
	v_mad_u64_u32 v[5:6], s[0:1], s3, v12, v[2:3]
	v_add_co_u32_e32 v0, vcc, v25, v0
	v_addc_co_u32_e32 v1, vcc, v39, v1, vcc
	v_pack_b32_f16 v2, v9, v10
	v_mov_b32_e32 v8, v5
	global_store_dword v[0:1], v2, off
	v_lshlrev_b64 v[0:1], 2, v[7:8]
	v_pack_b32_f16 v2, v3, v4
	v_add_co_u32_e32 v0, vcc, v25, v0
	v_addc_co_u32_e32 v1, vcc, v39, v1, vcc
	global_store_dword v[0:1], v2, off
.LBB0_15:
	s_endpgm
	.section	.rodata,"a",@progbits
	.p2align	6, 0x0
	.amdhsa_kernel fft_rtc_back_len3456_factors_6_6_6_4_4_wgs_144_tpt_144_halfLds_half_op_CI_CI_sbrr_dirReg
		.amdhsa_group_segment_fixed_size 0
		.amdhsa_private_segment_fixed_size 0
		.amdhsa_kernarg_size 104
		.amdhsa_user_sgpr_count 6
		.amdhsa_user_sgpr_private_segment_buffer 1
		.amdhsa_user_sgpr_dispatch_ptr 0
		.amdhsa_user_sgpr_queue_ptr 0
		.amdhsa_user_sgpr_kernarg_segment_ptr 1
		.amdhsa_user_sgpr_dispatch_id 0
		.amdhsa_user_sgpr_flat_scratch_init 0
		.amdhsa_user_sgpr_private_segment_size 0
		.amdhsa_uses_dynamic_stack 0
		.amdhsa_system_sgpr_private_segment_wavefront_offset 0
		.amdhsa_system_sgpr_workgroup_id_x 1
		.amdhsa_system_sgpr_workgroup_id_y 0
		.amdhsa_system_sgpr_workgroup_id_z 0
		.amdhsa_system_sgpr_workgroup_info 0
		.amdhsa_system_vgpr_workitem_id 0
		.amdhsa_next_free_vgpr 88
		.amdhsa_next_free_sgpr 32
		.amdhsa_reserve_vcc 1
		.amdhsa_reserve_flat_scratch 0
		.amdhsa_float_round_mode_32 0
		.amdhsa_float_round_mode_16_64 0
		.amdhsa_float_denorm_mode_32 3
		.amdhsa_float_denorm_mode_16_64 3
		.amdhsa_dx10_clamp 1
		.amdhsa_ieee_mode 1
		.amdhsa_fp16_overflow 0
		.amdhsa_exception_fp_ieee_invalid_op 0
		.amdhsa_exception_fp_denorm_src 0
		.amdhsa_exception_fp_ieee_div_zero 0
		.amdhsa_exception_fp_ieee_overflow 0
		.amdhsa_exception_fp_ieee_underflow 0
		.amdhsa_exception_fp_ieee_inexact 0
		.amdhsa_exception_int_div_zero 0
	.end_amdhsa_kernel
	.text
.Lfunc_end0:
	.size	fft_rtc_back_len3456_factors_6_6_6_4_4_wgs_144_tpt_144_halfLds_half_op_CI_CI_sbrr_dirReg, .Lfunc_end0-fft_rtc_back_len3456_factors_6_6_6_4_4_wgs_144_tpt_144_halfLds_half_op_CI_CI_sbrr_dirReg
                                        ; -- End function
	.section	.AMDGPU.csdata,"",@progbits
; Kernel info:
; codeLenInByte = 16048
; NumSgprs: 36
; NumVgprs: 88
; ScratchSize: 0
; MemoryBound: 0
; FloatMode: 240
; IeeeMode: 1
; LDSByteSize: 0 bytes/workgroup (compile time only)
; SGPRBlocks: 4
; VGPRBlocks: 21
; NumSGPRsForWavesPerEU: 36
; NumVGPRsForWavesPerEU: 88
; Occupancy: 2
; WaveLimiterHint : 1
; COMPUTE_PGM_RSRC2:SCRATCH_EN: 0
; COMPUTE_PGM_RSRC2:USER_SGPR: 6
; COMPUTE_PGM_RSRC2:TRAP_HANDLER: 0
; COMPUTE_PGM_RSRC2:TGID_X_EN: 1
; COMPUTE_PGM_RSRC2:TGID_Y_EN: 0
; COMPUTE_PGM_RSRC2:TGID_Z_EN: 0
; COMPUTE_PGM_RSRC2:TIDIG_COMP_CNT: 0
	.type	__hip_cuid_fa35a073c1b867f5,@object ; @__hip_cuid_fa35a073c1b867f5
	.section	.bss,"aw",@nobits
	.globl	__hip_cuid_fa35a073c1b867f5
__hip_cuid_fa35a073c1b867f5:
	.byte	0                               ; 0x0
	.size	__hip_cuid_fa35a073c1b867f5, 1

	.ident	"AMD clang version 19.0.0git (https://github.com/RadeonOpenCompute/llvm-project roc-6.4.0 25133 c7fe45cf4b819c5991fe208aaa96edf142730f1d)"
	.section	".note.GNU-stack","",@progbits
	.addrsig
	.addrsig_sym __hip_cuid_fa35a073c1b867f5
	.amdgpu_metadata
---
amdhsa.kernels:
  - .args:
      - .actual_access:  read_only
        .address_space:  global
        .offset:         0
        .size:           8
        .value_kind:     global_buffer
      - .offset:         8
        .size:           8
        .value_kind:     by_value
      - .actual_access:  read_only
        .address_space:  global
        .offset:         16
        .size:           8
        .value_kind:     global_buffer
      - .actual_access:  read_only
        .address_space:  global
        .offset:         24
        .size:           8
        .value_kind:     global_buffer
      - .actual_access:  read_only
        .address_space:  global
        .offset:         32
        .size:           8
        .value_kind:     global_buffer
      - .offset:         40
        .size:           8
        .value_kind:     by_value
      - .actual_access:  read_only
        .address_space:  global
        .offset:         48
        .size:           8
        .value_kind:     global_buffer
      - .actual_access:  read_only
        .address_space:  global
        .offset:         56
        .size:           8
        .value_kind:     global_buffer
      - .offset:         64
        .size:           4
        .value_kind:     by_value
      - .actual_access:  read_only
        .address_space:  global
        .offset:         72
        .size:           8
        .value_kind:     global_buffer
      - .actual_access:  read_only
        .address_space:  global
        .offset:         80
        .size:           8
        .value_kind:     global_buffer
      - .actual_access:  read_only
        .address_space:  global
        .offset:         88
        .size:           8
        .value_kind:     global_buffer
      - .actual_access:  write_only
        .address_space:  global
        .offset:         96
        .size:           8
        .value_kind:     global_buffer
    .group_segment_fixed_size: 0
    .kernarg_segment_align: 8
    .kernarg_segment_size: 104
    .language:       OpenCL C
    .language_version:
      - 2
      - 0
    .max_flat_workgroup_size: 144
    .name:           fft_rtc_back_len3456_factors_6_6_6_4_4_wgs_144_tpt_144_halfLds_half_op_CI_CI_sbrr_dirReg
    .private_segment_fixed_size: 0
    .sgpr_count:     36
    .sgpr_spill_count: 0
    .symbol:         fft_rtc_back_len3456_factors_6_6_6_4_4_wgs_144_tpt_144_halfLds_half_op_CI_CI_sbrr_dirReg.kd
    .uniform_work_group_size: 1
    .uses_dynamic_stack: false
    .vgpr_count:     88
    .vgpr_spill_count: 0
    .wavefront_size: 64
amdhsa.target:   amdgcn-amd-amdhsa--gfx906
amdhsa.version:
  - 1
  - 2
...

	.end_amdgpu_metadata
